;; amdgpu-corpus repo=pytorch/pytorch kind=compiled arch=gfx906 opt=O3
	.amdgcn_target "amdgcn-amd-amdhsa--gfx906"
	.amdhsa_code_object_version 6
	.section	.text._ZN2at6native12_GLOBAL__N_137multilabel_margin_loss_forward_kernelIddEEvPT_PKS3_PKlS4_iib,"axG",@progbits,_ZN2at6native12_GLOBAL__N_137multilabel_margin_loss_forward_kernelIddEEvPT_PKS3_PKlS4_iib,comdat
	.globl	_ZN2at6native12_GLOBAL__N_137multilabel_margin_loss_forward_kernelIddEEvPT_PKS3_PKlS4_iib ; -- Begin function _ZN2at6native12_GLOBAL__N_137multilabel_margin_loss_forward_kernelIddEEvPT_PKS3_PKlS4_iib
	.p2align	8
	.type	_ZN2at6native12_GLOBAL__N_137multilabel_margin_loss_forward_kernelIddEEvPT_PKS3_PKlS4_iib,@function
_ZN2at6native12_GLOBAL__N_137multilabel_margin_loss_forward_kernelIddEEvPT_PKS3_PKlS4_iib: ; @_ZN2at6native12_GLOBAL__N_137multilabel_margin_loss_forward_kernelIddEEvPT_PKS3_PKlS4_iib
; %bb.0:
	s_load_dwordx4 s[16:19], s[4:5], 0x20
	s_load_dwordx8 s[8:15], s[4:5], 0x0
	s_waitcnt lgkmcnt(0)
	s_mul_i32 s0, s17, s6
	s_ashr_i32 s1, s0, 31
	s_lshl_b64 s[20:21], s[0:1], 3
	s_add_u32 s7, s14, s20
	v_cmp_le_i32_e64 s[2:3], s17, v0
	s_addc_u32 s19, s15, s21
	v_cmp_gt_i32_e32 vcc, s17, v0
	s_and_saveexec_b64 s[0:1], vcc
	s_cbranch_execz .LBB0_3
; %bb.1:
	s_load_dword s22, s[4:5], 0x3c
	v_mov_b32_e32 v1, 0
	s_mov_b64 s[14:15], 0
	v_mov_b32_e32 v5, s19
	v_mov_b32_e32 v2, v1
	s_waitcnt lgkmcnt(0)
	s_and_b32 s22, s22, 0xffff
	v_mov_b32_e32 v3, v0
.LBB0_2:                                ; =>This Inner Loop Header: Depth=1
	v_ashrrev_i32_e32 v4, 31, v3
	v_lshlrev_b64 v[6:7], 3, v[3:4]
	v_add_u32_e32 v3, s22, v3
	v_add_co_u32_e32 v6, vcc, s7, v6
	v_addc_co_u32_e32 v7, vcc, v5, v7, vcc
	v_cmp_le_i32_e32 vcc, s17, v3
	s_or_b64 s[14:15], vcc, s[14:15]
	global_store_dwordx2 v[6:7], v[1:2], off
	s_andn2_b64 exec, exec, s[14:15]
	s_cbranch_execnz .LBB0_2
.LBB0_3:
	s_or_b64 exec, exec, s[0:1]
	s_add_u32 s12, s12, s20
	s_addc_u32 s13, s13, s21
	s_cmp_gt_i32 s17, 0
	v_cmp_eq_u32_e64 s[0:1], 0, v0
	s_cselect_b64 s[14:15], -1, 0
	s_mov_b32 s23, 0
	s_and_b64 s[26:27], s[0:1], s[14:15]
	s_waitcnt vmcnt(0)
	s_barrier
	s_and_saveexec_b64 s[24:25], s[26:27]
	s_cbranch_execz .LBB0_8
; %bb.4:
	v_mov_b32_e32 v1, 0
	v_mov_b32_e32 v2, 0x3ff00000
	s_mov_b64 s[26:27], s[12:13]
	s_mov_b32 s33, s17
	s_branch .LBB0_6
.LBB0_5:                                ;   in Loop: Header=BB0_6 Depth=1
	s_andn2_b64 vcc, exec, s[28:29]
	s_cbranch_vccz .LBB0_8
.LBB0_6:                                ; =>This Inner Loop Header: Depth=1
	s_load_dwordx2 s[30:31], s[26:27], 0x0
	s_mov_b64 s[28:29], -1
	s_waitcnt lgkmcnt(0)
	s_and_b32 s22, s30, 0x80000000
	s_cmp_lg_u64 s[22:23], 0
	s_cbranch_scc1 .LBB0_5
; %bb.7:                                ;   in Loop: Header=BB0_6 Depth=1
	s_and_b32 s22, s30, 0x7fffffff
	s_lshl_b64 s[28:29], s[22:23], 3
	s_add_u32 s28, s7, s28
	s_addc_u32 s29, s19, s29
	s_add_i32 s33, s33, -1
	s_add_u32 s26, s26, 8
	s_addc_u32 s27, s27, 0
	s_cmp_eq_u32 s33, 0
	global_store_dwordx2 v1, v[1:2], s[28:29]
	s_cselect_b64 s[28:29], -1, 0
	s_branch .LBB0_5
.LBB0_8:
	s_or_b64 exec, exec, s[24:25]
	s_andn2_b64 vcc, exec, s[14:15]
	s_waitcnt vmcnt(0)
	s_barrier
	s_cbranch_vccnz .LBB0_17
; %bb.9:
	s_add_u32 s28, s10, s20
	s_addc_u32 s29, s11, s21
	s_add_u32 s10, s4, 48
	s_mov_b32 s15, 0
	v_mov_b32_e32 v1, 0
	s_addc_u32 s11, s5, 0
	v_mov_b32_e32 v2, 0
	v_mov_b32_e32 v8, 0
	s_mov_b32 s14, s15
	s_branch .LBB0_12
.LBB0_10:                               ;   in Loop: Header=BB0_12 Depth=1
	s_or_b64 exec, exec, s[24:25]
.LBB0_11:                               ;   in Loop: Header=BB0_12 Depth=1
	s_or_b64 exec, exec, s[22:23]
	s_add_i32 s14, s14, 1
	s_cmp_eq_u32 s14, s17
	s_cselect_b64 s[22:23], -1, 0
	s_or_b64 s[20:21], s[20:21], s[22:23]
	s_andn2_b64 vcc, exec, s[20:21]
	s_cbranch_vccz .LBB0_18
.LBB0_12:                               ; =>This Loop Header: Depth=1
                                        ;     Child Loop BB0_15 Depth 2
	s_lshl_b64 s[20:21], s[14:15], 3
	s_add_u32 s20, s12, s20
	s_addc_u32 s21, s13, s21
	s_load_dwordx2 s[24:25], s[20:21], 0x0
	s_waitcnt lgkmcnt(0)
	s_bitcmp1_b32 s24, 31
	s_cselect_b64 s[20:21], -1, 0
	s_nor_b64 s[26:27], s[20:21], s[2:3]
	s_and_saveexec_b64 s[22:23], s[26:27]
	s_cbranch_execz .LBB0_11
; %bb.13:                               ;   in Loop: Header=BB0_12 Depth=1
	s_bitset0_b32 s24, 31
	s_mov_b32 s25, s15
	s_lshl_b64 s[24:25], s[24:25], 3
	s_add_u32 s24, s28, s24
	s_addc_u32 s25, s29, s25
	global_load_dwordx2 v[3:4], v8, s[24:25]
	s_load_dword s24, s[10:11], 0xc
	v_mov_b32_e32 v5, v0
	s_waitcnt lgkmcnt(0)
	s_and_b32 s30, s24, 0xffff
	s_mov_b64 s[24:25], 0
	s_waitcnt vmcnt(0)
	v_add_f64 v[3:4], -v[3:4], 1.0
	s_branch .LBB0_15
.LBB0_14:                               ;   in Loop: Header=BB0_15 Depth=2
	s_or_b64 exec, exec, s[26:27]
	v_add_u32_e32 v5, s30, v5
	v_cmp_le_i32_e32 vcc, s17, v5
	s_or_b64 s[24:25], vcc, s[24:25]
	s_andn2_b64 exec, exec, s[24:25]
	s_cbranch_execz .LBB0_10
.LBB0_15:                               ;   Parent Loop BB0_12 Depth=1
                                        ; =>  This Inner Loop Header: Depth=2
	v_ashrrev_i32_e32 v6, 31, v5
	v_lshlrev_b64 v[6:7], 3, v[5:6]
	v_mov_b32_e32 v10, s19
	v_add_co_u32_e32 v9, vcc, s7, v6
	v_addc_co_u32_e32 v10, vcc, v10, v7, vcc
	global_load_dwordx2 v[9:10], v[9:10], off
	s_waitcnt vmcnt(0)
	v_cvt_i32_f64_e32 v9, v[9:10]
	v_cmp_eq_u32_e32 vcc, 0, v9
	s_and_saveexec_b64 s[26:27], vcc
	s_cbranch_execz .LBB0_14
; %bb.16:                               ;   in Loop: Header=BB0_15 Depth=2
	v_mov_b32_e32 v9, s29
	v_add_co_u32_e32 v6, vcc, s28, v6
	v_addc_co_u32_e32 v7, vcc, v9, v7, vcc
	global_load_dwordx2 v[6:7], v[6:7], off
	s_waitcnt vmcnt(0)
	v_add_f64 v[6:7], v[3:4], v[6:7]
	v_add_f64 v[9:10], v[1:2], v[6:7]
	v_cmp_lt_f64_e32 vcc, 0, v[6:7]
	v_cndmask_b32_e32 v2, v2, v10, vcc
	v_cndmask_b32_e32 v1, v1, v9, vcc
	s_branch .LBB0_14
.LBB0_17:
	v_mov_b32_e32 v1, 0
	v_mov_b32_e32 v2, 0
.LBB0_18:
	v_mbcnt_lo_u32_b32 v3, -1, 0
	v_mbcnt_hi_u32_b32 v10, -1, v3
	v_mov_b32_e32 v3, 0x80
	v_lshl_or_b32 v5, v10, 2, v3
	ds_bpermute_b32 v3, v5, v1
	ds_bpermute_b32 v4, v5, v2
	v_and_b32_e32 v12, 63, v10
	v_cmp_gt_u32_e32 vcc, 48, v12
	v_and_b32_e32 v11, 63, v0
	s_waitcnt lgkmcnt(0)
	v_add_f64 v[1:2], v[1:2], v[3:4]
	v_cndmask_b32_e64 v3, 0, 16, vcc
	v_add_lshl_u32 v6, v3, v10, 2
	v_cmp_gt_u32_e32 vcc, 56, v12
	s_barrier
	ds_bpermute_b32 v3, v6, v1
	ds_bpermute_b32 v4, v6, v2
	s_waitcnt lgkmcnt(0)
	v_add_f64 v[1:2], v[1:2], v[3:4]
	v_cndmask_b32_e64 v3, 0, 8, vcc
	v_add_lshl_u32 v7, v3, v10, 2
	v_cmp_gt_u32_e32 vcc, 60, v12
	ds_bpermute_b32 v3, v7, v1
	ds_bpermute_b32 v4, v7, v2
	s_waitcnt lgkmcnt(0)
	v_add_f64 v[1:2], v[1:2], v[3:4]
	v_cndmask_b32_e64 v3, 0, 4, vcc
	v_add_lshl_u32 v8, v3, v10, 2
	v_cmp_gt_u32_e32 vcc, 62, v12
	ds_bpermute_b32 v3, v8, v1
	ds_bpermute_b32 v4, v8, v2
	s_waitcnt lgkmcnt(0)
	v_add_f64 v[1:2], v[1:2], v[3:4]
	v_cndmask_b32_e64 v3, 0, 2, vcc
	v_add_lshl_u32 v9, v3, v10, 2
	v_cmp_ne_u32_e32 vcc, 63, v12
	ds_bpermute_b32 v3, v9, v1
	ds_bpermute_b32 v4, v9, v2
	s_waitcnt lgkmcnt(0)
	v_add_f64 v[1:2], v[1:2], v[3:4]
	v_addc_co_u32_e32 v3, vcc, 0, v10, vcc
	v_lshlrev_b32_e32 v10, 2, v3
	v_cmp_eq_u32_e32 vcc, 0, v11
	ds_bpermute_b32 v3, v10, v1
	ds_bpermute_b32 v4, v10, v2
	s_and_saveexec_b64 s[2:3], vcc
	s_cbranch_execz .LBB0_20
; %bb.19:
	s_waitcnt lgkmcnt(0)
	v_add_f64 v[1:2], v[1:2], v[3:4]
	v_lshrrev_b32_e32 v3, 3, v0
	ds_write_b64 v3, v[1:2]
.LBB0_20:
	s_or_b64 exec, exec, s[2:3]
	s_waitcnt lgkmcnt(0)
	s_barrier
	s_load_dword s2, s[4:5], 0x3c
	v_mov_b32_e32 v1, 0
	v_mov_b32_e32 v2, 0
	s_waitcnt lgkmcnt(0)
	s_bfe_u32 s2, s2, 0xa0006
	v_cmp_gt_u32_e32 vcc, s2, v0
	s_and_saveexec_b64 s[2:3], vcc
	s_cbranch_execnz .LBB0_24
; %bb.21:
	s_or_b64 exec, exec, s[2:3]
	v_cmp_gt_u32_e32 vcc, 64, v0
	s_and_saveexec_b64 s[2:3], vcc
	s_cbranch_execnz .LBB0_25
.LBB0_22:
	s_or_b64 exec, exec, s[2:3]
	s_and_saveexec_b64 s[2:3], s[0:1]
	s_cbranch_execnz .LBB0_26
.LBB0_23:
	s_endpgm
.LBB0_24:
	v_lshlrev_b32_e32 v1, 3, v11
	ds_read_b64 v[1:2], v1
	s_or_b64 exec, exec, s[2:3]
	v_cmp_gt_u32_e32 vcc, 64, v0
	s_and_saveexec_b64 s[2:3], vcc
	s_cbranch_execz .LBB0_22
.LBB0_25:
	s_waitcnt lgkmcnt(0)
	ds_bpermute_b32 v3, v5, v1
	ds_bpermute_b32 v4, v5, v2
	s_waitcnt lgkmcnt(0)
	v_add_f64 v[0:1], v[1:2], v[3:4]
	ds_bpermute_b32 v2, v6, v0
	ds_bpermute_b32 v3, v6, v1
	s_waitcnt lgkmcnt(0)
	v_add_f64 v[0:1], v[0:1], v[2:3]
	;; [unrolled: 4-line block ×6, first 2 shown]
	s_or_b64 exec, exec, s[2:3]
	s_and_saveexec_b64 s[2:3], s[0:1]
	s_cbranch_execz .LBB0_23
.LBB0_26:
	v_cvt_f64_i32_e32 v[3:4], s17
	s_bitcmp0_b32 s18, 0
	s_waitcnt lgkmcnt(0)
	v_div_scale_f64 v[5:6], s[0:1], v[3:4], v[3:4], v[1:2]
	v_div_scale_f64 v[11:12], vcc, v[1:2], v[3:4], v[1:2]
	v_rcp_f64_e32 v[7:8], v[5:6]
	v_fma_f64 v[9:10], -v[5:6], v[7:8], 1.0
	v_fma_f64 v[7:8], v[7:8], v[9:10], v[7:8]
	v_fma_f64 v[9:10], -v[5:6], v[7:8], 1.0
	v_fma_f64 v[7:8], v[7:8], v[9:10], v[7:8]
	v_mul_f64 v[9:10], v[11:12], v[7:8]
	v_fma_f64 v[5:6], -v[5:6], v[9:10], v[11:12]
	v_div_fmas_f64 v[5:6], v[5:6], v[7:8], v[9:10]
	v_div_fixup_f64 v[0:1], v[5:6], v[3:4], v[1:2]
	s_cbranch_scc1 .LBB0_28
; %bb.27:
	v_cvt_f64_i32_e32 v[2:3], s16
	v_div_scale_f64 v[4:5], s[0:1], v[2:3], v[2:3], v[0:1]
	v_div_scale_f64 v[10:11], vcc, v[0:1], v[2:3], v[0:1]
	v_rcp_f64_e32 v[6:7], v[4:5]
	v_fma_f64 v[8:9], -v[4:5], v[6:7], 1.0
	v_fma_f64 v[6:7], v[6:7], v[8:9], v[6:7]
	v_fma_f64 v[8:9], -v[4:5], v[6:7], 1.0
	v_fma_f64 v[6:7], v[6:7], v[8:9], v[6:7]
	v_mul_f64 v[8:9], v[10:11], v[6:7]
	v_fma_f64 v[4:5], -v[4:5], v[8:9], v[10:11]
	v_div_fmas_f64 v[4:5], v[4:5], v[6:7], v[8:9]
	v_div_fixup_f64 v[0:1], v[4:5], v[2:3], v[0:1]
.LBB0_28:
	s_ashr_i32 s7, s6, 31
	s_lshl_b64 s[0:1], s[6:7], 3
	s_add_u32 s0, s8, s0
	s_addc_u32 s1, s9, s1
	v_mov_b32_e32 v2, 0
	global_store_dwordx2 v2, v[0:1], s[0:1]
	s_endpgm
	.section	.rodata,"a",@progbits
	.p2align	6, 0x0
	.amdhsa_kernel _ZN2at6native12_GLOBAL__N_137multilabel_margin_loss_forward_kernelIddEEvPT_PKS3_PKlS4_iib
		.amdhsa_group_segment_fixed_size 1024
		.amdhsa_private_segment_fixed_size 0
		.amdhsa_kernarg_size 304
		.amdhsa_user_sgpr_count 6
		.amdhsa_user_sgpr_private_segment_buffer 1
		.amdhsa_user_sgpr_dispatch_ptr 0
		.amdhsa_user_sgpr_queue_ptr 0
		.amdhsa_user_sgpr_kernarg_segment_ptr 1
		.amdhsa_user_sgpr_dispatch_id 0
		.amdhsa_user_sgpr_flat_scratch_init 0
		.amdhsa_user_sgpr_private_segment_size 0
		.amdhsa_uses_dynamic_stack 0
		.amdhsa_system_sgpr_private_segment_wavefront_offset 0
		.amdhsa_system_sgpr_workgroup_id_x 1
		.amdhsa_system_sgpr_workgroup_id_y 0
		.amdhsa_system_sgpr_workgroup_id_z 0
		.amdhsa_system_sgpr_workgroup_info 0
		.amdhsa_system_vgpr_workitem_id 0
		.amdhsa_next_free_vgpr 13
		.amdhsa_next_free_sgpr 34
		.amdhsa_reserve_vcc 1
		.amdhsa_reserve_flat_scratch 0
		.amdhsa_float_round_mode_32 0
		.amdhsa_float_round_mode_16_64 0
		.amdhsa_float_denorm_mode_32 3
		.amdhsa_float_denorm_mode_16_64 3
		.amdhsa_dx10_clamp 1
		.amdhsa_ieee_mode 1
		.amdhsa_fp16_overflow 0
		.amdhsa_exception_fp_ieee_invalid_op 0
		.amdhsa_exception_fp_denorm_src 0
		.amdhsa_exception_fp_ieee_div_zero 0
		.amdhsa_exception_fp_ieee_overflow 0
		.amdhsa_exception_fp_ieee_underflow 0
		.amdhsa_exception_fp_ieee_inexact 0
		.amdhsa_exception_int_div_zero 0
	.end_amdhsa_kernel
	.section	.text._ZN2at6native12_GLOBAL__N_137multilabel_margin_loss_forward_kernelIddEEvPT_PKS3_PKlS4_iib,"axG",@progbits,_ZN2at6native12_GLOBAL__N_137multilabel_margin_loss_forward_kernelIddEEvPT_PKS3_PKlS4_iib,comdat
.Lfunc_end0:
	.size	_ZN2at6native12_GLOBAL__N_137multilabel_margin_loss_forward_kernelIddEEvPT_PKS3_PKlS4_iib, .Lfunc_end0-_ZN2at6native12_GLOBAL__N_137multilabel_margin_loss_forward_kernelIddEEvPT_PKS3_PKlS4_iib
                                        ; -- End function
	.set _ZN2at6native12_GLOBAL__N_137multilabel_margin_loss_forward_kernelIddEEvPT_PKS3_PKlS4_iib.num_vgpr, 13
	.set _ZN2at6native12_GLOBAL__N_137multilabel_margin_loss_forward_kernelIddEEvPT_PKS3_PKlS4_iib.num_agpr, 0
	.set _ZN2at6native12_GLOBAL__N_137multilabel_margin_loss_forward_kernelIddEEvPT_PKS3_PKlS4_iib.numbered_sgpr, 34
	.set _ZN2at6native12_GLOBAL__N_137multilabel_margin_loss_forward_kernelIddEEvPT_PKS3_PKlS4_iib.num_named_barrier, 0
	.set _ZN2at6native12_GLOBAL__N_137multilabel_margin_loss_forward_kernelIddEEvPT_PKS3_PKlS4_iib.private_seg_size, 0
	.set _ZN2at6native12_GLOBAL__N_137multilabel_margin_loss_forward_kernelIddEEvPT_PKS3_PKlS4_iib.uses_vcc, 1
	.set _ZN2at6native12_GLOBAL__N_137multilabel_margin_loss_forward_kernelIddEEvPT_PKS3_PKlS4_iib.uses_flat_scratch, 0
	.set _ZN2at6native12_GLOBAL__N_137multilabel_margin_loss_forward_kernelIddEEvPT_PKS3_PKlS4_iib.has_dyn_sized_stack, 0
	.set _ZN2at6native12_GLOBAL__N_137multilabel_margin_loss_forward_kernelIddEEvPT_PKS3_PKlS4_iib.has_recursion, 0
	.set _ZN2at6native12_GLOBAL__N_137multilabel_margin_loss_forward_kernelIddEEvPT_PKS3_PKlS4_iib.has_indirect_call, 0
	.section	.AMDGPU.csdata,"",@progbits
; Kernel info:
; codeLenInByte = 1508
; TotalNumSgprs: 38
; NumVgprs: 13
; ScratchSize: 0
; MemoryBound: 0
; FloatMode: 240
; IeeeMode: 1
; LDSByteSize: 1024 bytes/workgroup (compile time only)
; SGPRBlocks: 4
; VGPRBlocks: 3
; NumSGPRsForWavesPerEU: 38
; NumVGPRsForWavesPerEU: 13
; Occupancy: 10
; WaveLimiterHint : 1
; COMPUTE_PGM_RSRC2:SCRATCH_EN: 0
; COMPUTE_PGM_RSRC2:USER_SGPR: 6
; COMPUTE_PGM_RSRC2:TRAP_HANDLER: 0
; COMPUTE_PGM_RSRC2:TGID_X_EN: 1
; COMPUTE_PGM_RSRC2:TGID_Y_EN: 0
; COMPUTE_PGM_RSRC2:TGID_Z_EN: 0
; COMPUTE_PGM_RSRC2:TIDIG_COMP_CNT: 0
	.section	.text._ZN2at6native12_GLOBAL__N_137multilabel_margin_loss_forward_kernelIffEEvPT_PKS3_PKlS4_iib,"axG",@progbits,_ZN2at6native12_GLOBAL__N_137multilabel_margin_loss_forward_kernelIffEEvPT_PKS3_PKlS4_iib,comdat
	.globl	_ZN2at6native12_GLOBAL__N_137multilabel_margin_loss_forward_kernelIffEEvPT_PKS3_PKlS4_iib ; -- Begin function _ZN2at6native12_GLOBAL__N_137multilabel_margin_loss_forward_kernelIffEEvPT_PKS3_PKlS4_iib
	.p2align	8
	.type	_ZN2at6native12_GLOBAL__N_137multilabel_margin_loss_forward_kernelIffEEvPT_PKS3_PKlS4_iib,@function
_ZN2at6native12_GLOBAL__N_137multilabel_margin_loss_forward_kernelIffEEvPT_PKS3_PKlS4_iib: ; @_ZN2at6native12_GLOBAL__N_137multilabel_margin_loss_forward_kernelIffEEvPT_PKS3_PKlS4_iib
; %bb.0:
	s_load_dwordx4 s[16:19], s[4:5], 0x20
	s_load_dwordx8 s[8:15], s[4:5], 0x0
	s_waitcnt lgkmcnt(0)
	s_mul_i32 s0, s17, s6
	s_ashr_i32 s1, s0, 31
	s_lshl_b64 s[20:21], s[0:1], 2
	s_add_u32 s7, s14, s20
	v_cmp_le_i32_e64 s[2:3], s17, v0
	s_addc_u32 s19, s15, s21
	v_cmp_gt_i32_e32 vcc, s17, v0
	s_and_saveexec_b64 s[14:15], vcc
	s_cbranch_execz .LBB1_3
; %bb.1:
	s_load_dword s24, s[4:5], 0x3c
	s_mov_b64 s[22:23], 0
	v_mov_b32_e32 v3, s19
	v_mov_b32_e32 v4, 0
	;; [unrolled: 1-line block ×3, first 2 shown]
	s_waitcnt lgkmcnt(0)
	s_and_b32 s24, s24, 0xffff
.LBB1_2:                                ; =>This Inner Loop Header: Depth=1
	v_ashrrev_i32_e32 v2, 31, v1
	v_lshlrev_b64 v[5:6], 2, v[1:2]
	v_add_u32_e32 v1, s24, v1
	v_add_co_u32_e32 v5, vcc, s7, v5
	v_addc_co_u32_e32 v6, vcc, v3, v6, vcc
	v_cmp_le_i32_e32 vcc, s17, v1
	s_or_b64 s[22:23], vcc, s[22:23]
	global_store_dword v[5:6], v4, off
	s_andn2_b64 exec, exec, s[22:23]
	s_cbranch_execnz .LBB1_2
.LBB1_3:
	s_or_b64 exec, exec, s[14:15]
	s_lshl_b64 s[0:1], s[0:1], 3
	s_add_u32 s12, s12, s0
	s_addc_u32 s13, s13, s1
	s_cmp_gt_i32 s17, 0
	v_cmp_eq_u32_e64 s[0:1], 0, v0
	s_cselect_b64 s[14:15], -1, 0
	s_mov_b32 s23, 0
	s_and_b64 s[26:27], s[0:1], s[14:15]
	s_waitcnt vmcnt(0)
	s_barrier
	s_and_saveexec_b64 s[24:25], s[26:27]
	s_cbranch_execz .LBB1_8
; %bb.4:
	v_mov_b32_e32 v1, 0
	v_mov_b32_e32 v2, 1.0
	s_mov_b64 s[26:27], s[12:13]
	s_mov_b32 s33, s17
	s_branch .LBB1_6
.LBB1_5:                                ;   in Loop: Header=BB1_6 Depth=1
	s_andn2_b64 vcc, exec, s[28:29]
	s_cbranch_vccz .LBB1_8
.LBB1_6:                                ; =>This Inner Loop Header: Depth=1
	s_load_dwordx2 s[30:31], s[26:27], 0x0
	s_mov_b64 s[28:29], -1
	s_waitcnt lgkmcnt(0)
	s_and_b32 s22, s30, 0x80000000
	s_cmp_lg_u64 s[22:23], 0
	s_cbranch_scc1 .LBB1_5
; %bb.7:                                ;   in Loop: Header=BB1_6 Depth=1
	s_and_b32 s22, s30, 0x7fffffff
	s_lshl_b64 s[28:29], s[22:23], 2
	s_add_u32 s28, s7, s28
	s_addc_u32 s29, s19, s29
	s_add_i32 s33, s33, -1
	s_add_u32 s26, s26, 8
	s_addc_u32 s27, s27, 0
	s_cmp_eq_u32 s33, 0
	global_store_dword v1, v2, s[28:29]
	s_cselect_b64 s[28:29], -1, 0
	s_branch .LBB1_5
.LBB1_8:
	s_or_b64 exec, exec, s[24:25]
	s_andn2_b64 vcc, exec, s[14:15]
	s_waitcnt vmcnt(0)
	s_barrier
	s_cbranch_vccnz .LBB1_17
; %bb.9:
	s_add_u32 s28, s10, s20
	s_addc_u32 s29, s11, s21
	s_add_u32 s10, s4, 48
	s_mov_b32 s15, 0
	s_addc_u32 s11, s5, 0
	v_mov_b32_e32 v5, 0
	v_mov_b32_e32 v4, 0
	s_mov_b32 s14, s15
	s_branch .LBB1_12
.LBB1_10:                               ;   in Loop: Header=BB1_12 Depth=1
	s_or_b64 exec, exec, s[24:25]
.LBB1_11:                               ;   in Loop: Header=BB1_12 Depth=1
	s_or_b64 exec, exec, s[22:23]
	s_add_i32 s14, s14, 1
	s_cmp_eq_u32 s14, s17
	s_cselect_b64 s[22:23], -1, 0
	s_or_b64 s[20:21], s[20:21], s[22:23]
	s_andn2_b64 vcc, exec, s[20:21]
	s_cbranch_vccz .LBB1_18
.LBB1_12:                               ; =>This Loop Header: Depth=1
                                        ;     Child Loop BB1_15 Depth 2
	s_lshl_b64 s[20:21], s[14:15], 3
	s_add_u32 s20, s12, s20
	s_addc_u32 s21, s13, s21
	s_load_dwordx2 s[24:25], s[20:21], 0x0
	s_waitcnt lgkmcnt(0)
	s_bitcmp1_b32 s24, 31
	s_cselect_b64 s[20:21], -1, 0
	s_nor_b64 s[26:27], s[20:21], s[2:3]
	s_and_saveexec_b64 s[22:23], s[26:27]
	s_cbranch_execz .LBB1_11
; %bb.13:                               ;   in Loop: Header=BB1_12 Depth=1
	s_bitset0_b32 s24, 31
	s_mov_b32 s25, s15
	s_lshl_b64 s[24:25], s[24:25], 2
	s_add_u32 s24, s28, s24
	s_addc_u32 s25, s29, s25
	global_load_dword v1, v5, s[24:25]
	s_load_dword s26, s[10:11], 0xc
	s_mov_b64 s[24:25], 0
	s_waitcnt lgkmcnt(0)
	s_and_b32 s30, s26, 0xffff
	s_waitcnt vmcnt(0)
	v_sub_f32_e32 v6, 1.0, v1
	v_mov_b32_e32 v1, v0
	s_branch .LBB1_15
.LBB1_14:                               ;   in Loop: Header=BB1_15 Depth=2
	s_or_b64 exec, exec, s[26:27]
	v_add_u32_e32 v1, s30, v1
	v_cmp_le_i32_e32 vcc, s17, v1
	s_or_b64 s[24:25], vcc, s[24:25]
	s_andn2_b64 exec, exec, s[24:25]
	s_cbranch_execz .LBB1_10
.LBB1_15:                               ;   Parent Loop BB1_12 Depth=1
                                        ; =>  This Inner Loop Header: Depth=2
	v_ashrrev_i32_e32 v2, 31, v1
	v_lshlrev_b64 v[2:3], 2, v[1:2]
	v_mov_b32_e32 v8, s19
	v_add_co_u32_e32 v7, vcc, s7, v2
	v_addc_co_u32_e32 v8, vcc, v8, v3, vcc
	global_load_dword v7, v[7:8], off
	s_waitcnt vmcnt(0)
	v_cvt_i32_f32_e32 v7, v7
	v_cmp_eq_u32_e32 vcc, 0, v7
	s_and_saveexec_b64 s[26:27], vcc
	s_cbranch_execz .LBB1_14
; %bb.16:                               ;   in Loop: Header=BB1_15 Depth=2
	v_mov_b32_e32 v7, s29
	v_add_co_u32_e32 v2, vcc, s28, v2
	v_addc_co_u32_e32 v3, vcc, v7, v3, vcc
	global_load_dword v2, v[2:3], off
	s_waitcnt vmcnt(0)
	v_add_f32_e32 v2, v6, v2
	v_add_f32_e32 v3, v4, v2
	v_cmp_lt_f32_e32 vcc, 0, v2
	v_cndmask_b32_e32 v4, v4, v3, vcc
	s_branch .LBB1_14
.LBB1_17:
	v_mov_b32_e32 v4, 0
.LBB1_18:
	v_mbcnt_lo_u32_b32 v1, -1, 0
	v_mbcnt_hi_u32_b32 v6, -1, v1
	v_mov_b32_e32 v1, 0x80
	v_lshl_or_b32 v1, v6, 2, v1
	ds_bpermute_b32 v2, v1, v4
	v_and_b32_e32 v7, 63, v6
	v_cmp_gt_u32_e32 vcc, 48, v7
	v_cndmask_b32_e64 v3, 0, 16, vcc
	v_cmp_gt_u32_e32 vcc, 56, v7
	s_waitcnt lgkmcnt(0)
	v_add_f32_e32 v4, v4, v2
	v_add_lshl_u32 v2, v3, v6, 2
	ds_bpermute_b32 v5, v2, v4
	v_cndmask_b32_e64 v3, 0, 8, vcc
	v_add_lshl_u32 v3, v3, v6, 2
	v_cmp_gt_u32_e32 vcc, 60, v7
	s_waitcnt lgkmcnt(0)
	v_add_f32_e32 v5, v4, v5
	ds_bpermute_b32 v8, v3, v5
	v_cndmask_b32_e64 v4, 0, 4, vcc
	v_add_lshl_u32 v4, v4, v6, 2
	v_cmp_gt_u32_e32 vcc, 62, v7
	s_waitcnt lgkmcnt(0)
	s_barrier
	v_add_f32_e32 v8, v5, v8
	ds_bpermute_b32 v9, v4, v8
	v_cndmask_b32_e64 v5, 0, 2, vcc
	v_add_lshl_u32 v5, v5, v6, 2
	v_cmp_ne_u32_e32 vcc, 63, v7
	v_addc_co_u32_e32 v6, vcc, 0, v6, vcc
	s_waitcnt lgkmcnt(0)
	v_add_f32_e32 v9, v8, v9
	ds_bpermute_b32 v10, v5, v9
	v_lshlrev_b32_e32 v6, 2, v6
	v_and_b32_e32 v8, 63, v0
	v_cmp_eq_u32_e32 vcc, 0, v8
	s_waitcnt lgkmcnt(0)
	v_add_f32_e32 v7, v9, v10
	ds_bpermute_b32 v9, v6, v7
	s_and_saveexec_b64 s[2:3], vcc
	s_cbranch_execz .LBB1_20
; %bb.19:
	s_waitcnt lgkmcnt(0)
	v_add_f32_e32 v7, v7, v9
	v_lshrrev_b32_e32 v9, 4, v0
	ds_write_b32 v9, v7
.LBB1_20:
	s_or_b64 exec, exec, s[2:3]
	s_waitcnt lgkmcnt(0)
	s_barrier
	s_load_dword s2, s[4:5], 0x3c
	v_mov_b32_e32 v7, 0
	s_waitcnt lgkmcnt(0)
	s_bfe_u32 s2, s2, 0xa0006
	v_cmp_gt_u32_e32 vcc, s2, v0
	s_and_saveexec_b64 s[2:3], vcc
	s_cbranch_execnz .LBB1_24
; %bb.21:
	s_or_b64 exec, exec, s[2:3]
	v_cmp_gt_u32_e32 vcc, 64, v0
	s_and_saveexec_b64 s[2:3], vcc
	s_cbranch_execnz .LBB1_25
.LBB1_22:
	s_or_b64 exec, exec, s[2:3]
	s_and_saveexec_b64 s[2:3], s[0:1]
	s_cbranch_execnz .LBB1_26
.LBB1_23:
	s_endpgm
.LBB1_24:
	v_lshlrev_b32_e32 v7, 2, v8
	ds_read_b32 v7, v7
	s_or_b64 exec, exec, s[2:3]
	v_cmp_gt_u32_e32 vcc, 64, v0
	s_and_saveexec_b64 s[2:3], vcc
	s_cbranch_execz .LBB1_22
.LBB1_25:
	s_waitcnt lgkmcnt(0)
	ds_bpermute_b32 v0, v1, v7
	s_waitcnt lgkmcnt(0)
	v_add_f32_e32 v0, v7, v0
	ds_bpermute_b32 v1, v2, v0
	s_waitcnt lgkmcnt(0)
	v_add_f32_e32 v0, v0, v1
	;; [unrolled: 3-line block ×6, first 2 shown]
	s_or_b64 exec, exec, s[2:3]
	s_and_saveexec_b64 s[2:3], s[0:1]
	s_cbranch_execz .LBB1_23
.LBB1_26:
	v_cvt_f32_i32_e32 v0, s17
	s_bitcmp0_b32 s18, 0
	s_waitcnt lgkmcnt(0)
	v_div_scale_f32 v1, s[0:1], v0, v0, v7
	v_div_scale_f32 v2, vcc, v7, v0, v7
	v_rcp_f32_e32 v3, v1
	v_fma_f32 v4, -v1, v3, 1.0
	v_fmac_f32_e32 v3, v4, v3
	v_mul_f32_e32 v4, v2, v3
	v_fma_f32 v5, -v1, v4, v2
	v_fmac_f32_e32 v4, v5, v3
	v_fma_f32 v1, -v1, v4, v2
	v_div_fmas_f32 v1, v1, v3, v4
	v_div_fixup_f32 v0, v1, v0, v7
	s_cbranch_scc1 .LBB1_28
; %bb.27:
	v_cvt_f32_i32_e32 v1, s16
	v_div_scale_f32 v2, s[0:1], v1, v1, v0
	v_div_scale_f32 v3, vcc, v0, v1, v0
	v_rcp_f32_e32 v4, v2
	v_fma_f32 v5, -v2, v4, 1.0
	v_fmac_f32_e32 v4, v5, v4
	v_mul_f32_e32 v5, v3, v4
	v_fma_f32 v6, -v2, v5, v3
	v_fmac_f32_e32 v5, v6, v4
	v_fma_f32 v2, -v2, v5, v3
	v_div_fmas_f32 v2, v2, v4, v5
	v_div_fixup_f32 v0, v2, v1, v0
.LBB1_28:
	s_ashr_i32 s7, s6, 31
	s_lshl_b64 s[0:1], s[6:7], 2
	s_add_u32 s0, s8, s0
	s_addc_u32 s1, s9, s1
	v_mov_b32_e32 v1, 0
	global_store_dword v1, v0, s[0:1]
	s_endpgm
	.section	.rodata,"a",@progbits
	.p2align	6, 0x0
	.amdhsa_kernel _ZN2at6native12_GLOBAL__N_137multilabel_margin_loss_forward_kernelIffEEvPT_PKS3_PKlS4_iib
		.amdhsa_group_segment_fixed_size 512
		.amdhsa_private_segment_fixed_size 0
		.amdhsa_kernarg_size 304
		.amdhsa_user_sgpr_count 6
		.amdhsa_user_sgpr_private_segment_buffer 1
		.amdhsa_user_sgpr_dispatch_ptr 0
		.amdhsa_user_sgpr_queue_ptr 0
		.amdhsa_user_sgpr_kernarg_segment_ptr 1
		.amdhsa_user_sgpr_dispatch_id 0
		.amdhsa_user_sgpr_flat_scratch_init 0
		.amdhsa_user_sgpr_private_segment_size 0
		.amdhsa_uses_dynamic_stack 0
		.amdhsa_system_sgpr_private_segment_wavefront_offset 0
		.amdhsa_system_sgpr_workgroup_id_x 1
		.amdhsa_system_sgpr_workgroup_id_y 0
		.amdhsa_system_sgpr_workgroup_id_z 0
		.amdhsa_system_sgpr_workgroup_info 0
		.amdhsa_system_vgpr_workitem_id 0
		.amdhsa_next_free_vgpr 11
		.amdhsa_next_free_sgpr 34
		.amdhsa_reserve_vcc 1
		.amdhsa_reserve_flat_scratch 0
		.amdhsa_float_round_mode_32 0
		.amdhsa_float_round_mode_16_64 0
		.amdhsa_float_denorm_mode_32 3
		.amdhsa_float_denorm_mode_16_64 3
		.amdhsa_dx10_clamp 1
		.amdhsa_ieee_mode 1
		.amdhsa_fp16_overflow 0
		.amdhsa_exception_fp_ieee_invalid_op 0
		.amdhsa_exception_fp_denorm_src 0
		.amdhsa_exception_fp_ieee_div_zero 0
		.amdhsa_exception_fp_ieee_overflow 0
		.amdhsa_exception_fp_ieee_underflow 0
		.amdhsa_exception_fp_ieee_inexact 0
		.amdhsa_exception_int_div_zero 0
	.end_amdhsa_kernel
	.section	.text._ZN2at6native12_GLOBAL__N_137multilabel_margin_loss_forward_kernelIffEEvPT_PKS3_PKlS4_iib,"axG",@progbits,_ZN2at6native12_GLOBAL__N_137multilabel_margin_loss_forward_kernelIffEEvPT_PKS3_PKlS4_iib,comdat
.Lfunc_end1:
	.size	_ZN2at6native12_GLOBAL__N_137multilabel_margin_loss_forward_kernelIffEEvPT_PKS3_PKlS4_iib, .Lfunc_end1-_ZN2at6native12_GLOBAL__N_137multilabel_margin_loss_forward_kernelIffEEvPT_PKS3_PKlS4_iib
                                        ; -- End function
	.set _ZN2at6native12_GLOBAL__N_137multilabel_margin_loss_forward_kernelIffEEvPT_PKS3_PKlS4_iib.num_vgpr, 11
	.set _ZN2at6native12_GLOBAL__N_137multilabel_margin_loss_forward_kernelIffEEvPT_PKS3_PKlS4_iib.num_agpr, 0
	.set _ZN2at6native12_GLOBAL__N_137multilabel_margin_loss_forward_kernelIffEEvPT_PKS3_PKlS4_iib.numbered_sgpr, 34
	.set _ZN2at6native12_GLOBAL__N_137multilabel_margin_loss_forward_kernelIffEEvPT_PKS3_PKlS4_iib.num_named_barrier, 0
	.set _ZN2at6native12_GLOBAL__N_137multilabel_margin_loss_forward_kernelIffEEvPT_PKS3_PKlS4_iib.private_seg_size, 0
	.set _ZN2at6native12_GLOBAL__N_137multilabel_margin_loss_forward_kernelIffEEvPT_PKS3_PKlS4_iib.uses_vcc, 1
	.set _ZN2at6native12_GLOBAL__N_137multilabel_margin_loss_forward_kernelIffEEvPT_PKS3_PKlS4_iib.uses_flat_scratch, 0
	.set _ZN2at6native12_GLOBAL__N_137multilabel_margin_loss_forward_kernelIffEEvPT_PKS3_PKlS4_iib.has_dyn_sized_stack, 0
	.set _ZN2at6native12_GLOBAL__N_137multilabel_margin_loss_forward_kernelIffEEvPT_PKS3_PKlS4_iib.has_recursion, 0
	.set _ZN2at6native12_GLOBAL__N_137multilabel_margin_loss_forward_kernelIffEEvPT_PKS3_PKlS4_iib.has_indirect_call, 0
	.section	.AMDGPU.csdata,"",@progbits
; Kernel info:
; codeLenInByte = 1308
; TotalNumSgprs: 38
; NumVgprs: 11
; ScratchSize: 0
; MemoryBound: 0
; FloatMode: 240
; IeeeMode: 1
; LDSByteSize: 512 bytes/workgroup (compile time only)
; SGPRBlocks: 4
; VGPRBlocks: 2
; NumSGPRsForWavesPerEU: 38
; NumVGPRsForWavesPerEU: 11
; Occupancy: 10
; WaveLimiterHint : 1
; COMPUTE_PGM_RSRC2:SCRATCH_EN: 0
; COMPUTE_PGM_RSRC2:USER_SGPR: 6
; COMPUTE_PGM_RSRC2:TRAP_HANDLER: 0
; COMPUTE_PGM_RSRC2:TGID_X_EN: 1
; COMPUTE_PGM_RSRC2:TGID_Y_EN: 0
; COMPUTE_PGM_RSRC2:TGID_Z_EN: 0
; COMPUTE_PGM_RSRC2:TIDIG_COMP_CNT: 0
	.section	.text._ZN2at6native12_GLOBAL__N_137multilabel_margin_loss_forward_kernelIN3c104HalfEfEEvPT_PKS5_PKlS6_iib,"axG",@progbits,_ZN2at6native12_GLOBAL__N_137multilabel_margin_loss_forward_kernelIN3c104HalfEfEEvPT_PKS5_PKlS6_iib,comdat
	.globl	_ZN2at6native12_GLOBAL__N_137multilabel_margin_loss_forward_kernelIN3c104HalfEfEEvPT_PKS5_PKlS6_iib ; -- Begin function _ZN2at6native12_GLOBAL__N_137multilabel_margin_loss_forward_kernelIN3c104HalfEfEEvPT_PKS5_PKlS6_iib
	.p2align	8
	.type	_ZN2at6native12_GLOBAL__N_137multilabel_margin_loss_forward_kernelIN3c104HalfEfEEvPT_PKS5_PKlS6_iib,@function
_ZN2at6native12_GLOBAL__N_137multilabel_margin_loss_forward_kernelIN3c104HalfEfEEvPT_PKS5_PKlS6_iib: ; @_ZN2at6native12_GLOBAL__N_137multilabel_margin_loss_forward_kernelIN3c104HalfEfEEvPT_PKS5_PKlS6_iib
; %bb.0:
	s_load_dwordx4 s[16:19], s[4:5], 0x20
	s_load_dwordx8 s[8:15], s[4:5], 0x0
	s_waitcnt lgkmcnt(0)
	s_mul_i32 s0, s17, s6
	s_ashr_i32 s1, s0, 31
	s_lshl_b64 s[20:21], s[0:1], 1
	s_add_u32 s14, s14, s20
	s_addc_u32 s15, s15, s21
	v_cmp_gt_i32_e64 s[2:3], s17, v0
	s_and_saveexec_b64 s[22:23], s[2:3]
	s_cbranch_execz .LBB2_3
; %bb.1:
	s_load_dword s7, s[4:5], 0x3c
	s_mov_b64 s[24:25], 0
	v_mov_b32_e32 v3, s15
	v_mov_b32_e32 v4, 0
	v_mov_b32_e32 v1, v0
	s_waitcnt lgkmcnt(0)
	s_and_b32 s7, s7, 0xffff
.LBB2_2:                                ; =>This Inner Loop Header: Depth=1
	v_ashrrev_i32_e32 v2, 31, v1
	v_lshlrev_b64 v[5:6], 1, v[1:2]
	v_add_u32_e32 v1, s7, v1
	v_add_co_u32_e32 v5, vcc, s14, v5
	v_addc_co_u32_e32 v6, vcc, v3, v6, vcc
	v_cmp_le_i32_e32 vcc, s17, v1
	s_or_b64 s[24:25], vcc, s[24:25]
	global_store_short v[5:6], v4, off
	s_andn2_b64 exec, exec, s[24:25]
	s_cbranch_execnz .LBB2_2
.LBB2_3:
	s_or_b64 exec, exec, s[22:23]
	s_lshl_b64 s[0:1], s[0:1], 3
	s_add_u32 s12, s12, s0
	s_addc_u32 s13, s13, s1
	s_cmp_gt_i32 s17, 0
	v_cmp_eq_u32_e64 s[0:1], 0, v0
	s_cselect_b64 s[22:23], -1, 0
	s_mov_b32 s25, 0
	s_and_b64 s[28:29], s[0:1], s[22:23]
	s_waitcnt vmcnt(0)
	s_barrier
	s_and_saveexec_b64 s[26:27], s[28:29]
	s_cbranch_execz .LBB2_8
; %bb.4:
	v_mov_b32_e32 v1, 0x3c00
	s_mov_b64 s[28:29], s[12:13]
	s_mov_b32 s7, s17
	s_branch .LBB2_6
.LBB2_5:                                ;   in Loop: Header=BB2_6 Depth=1
	s_andn2_b64 vcc, exec, s[30:31]
	s_cbranch_vccz .LBB2_8
.LBB2_6:                                ; =>This Inner Loop Header: Depth=1
	s_load_dwordx2 s[34:35], s[28:29], 0x0
	s_mov_b64 s[30:31], -1
	s_waitcnt lgkmcnt(0)
	s_and_b32 s24, s34, 0x80000000
	s_cmp_lg_u64 s[24:25], 0
	s_cbranch_scc1 .LBB2_5
; %bb.7:                                ;   in Loop: Header=BB2_6 Depth=1
	s_lshl_b32 s19, s34, 1
	s_add_i32 s7, s7, -1
	s_add_u32 s28, s28, 8
	s_addc_u32 s29, s29, 0
	s_cmp_eq_u32 s7, 0
	v_mov_b32_e32 v2, s19
	s_cselect_b64 s[30:31], -1, 0
	global_store_short v2, v1, s[14:15]
	s_branch .LBB2_5
.LBB2_8:
	s_or_b64 exec, exec, s[26:27]
	s_andn2_b64 vcc, exec, s[22:23]
	s_waitcnt vmcnt(0)
	s_barrier
	s_cbranch_vccnz .LBB2_19
; %bb.9:
	s_add_u32 s10, s10, s20
	s_addc_u32 s11, s11, s21
	s_add_u32 s20, s4, 48
	s_mov_b32 s23, 0
	s_addc_u32 s21, s5, 0
	v_mov_b32_e32 v4, 0
	s_mov_b32 s22, s23
	s_branch .LBB2_13
.LBB2_10:                               ;   in Loop: Header=BB2_13 Depth=1
	s_or_b64 exec, exec, s[26:27]
.LBB2_11:                               ;   in Loop: Header=BB2_13 Depth=1
	s_or_b64 exec, exec, s[24:25]
	s_add_i32 s22, s22, 1
	s_cmp_eq_u32 s22, s17
	s_cselect_b64 s[24:25], -1, 0
.LBB2_12:                               ;   in Loop: Header=BB2_13 Depth=1
	s_and_b64 vcc, exec, s[24:25]
	s_cbranch_vccnz .LBB2_20
.LBB2_13:                               ; =>This Loop Header: Depth=1
                                        ;     Child Loop BB2_17 Depth 2
	s_lshl_b64 s[24:25], s[22:23], 3
	s_add_u32 s24, s12, s24
	s_addc_u32 s25, s13, s25
	s_load_dwordx2 s[26:27], s[24:25], 0x0
	s_mov_b32 s25, s23
	s_waitcnt lgkmcnt(0)
	s_and_b32 s24, s26, 0x80000000
	s_cmp_lg_u64 s[24:25], 0
	s_mov_b64 s[24:25], -1
	s_cbranch_scc1 .LBB2_12
; %bb.14:                               ;   in Loop: Header=BB2_13 Depth=1
	s_and_saveexec_b64 s[24:25], s[2:3]
	s_cbranch_execz .LBB2_11
; %bb.15:                               ;   in Loop: Header=BB2_13 Depth=1
	s_lshl_b32 s7, s26, 1
	v_mov_b32_e32 v1, s7
	global_load_ushort v1, v1, s[10:11]
	s_load_dword s7, s[20:21], 0xc
	s_mov_b64 s[26:27], 0
	s_waitcnt lgkmcnt(0)
	s_and_b32 s7, s7, 0xffff
	s_waitcnt vmcnt(0)
	v_sub_f16_e32 v5, 1.0, v1
	v_mov_b32_e32 v1, v0
	s_branch .LBB2_17
.LBB2_16:                               ;   in Loop: Header=BB2_17 Depth=2
	s_or_b64 exec, exec, s[28:29]
	v_add_u32_e32 v1, s7, v1
	v_cmp_le_i32_e32 vcc, s17, v1
	s_or_b64 s[26:27], vcc, s[26:27]
	s_andn2_b64 exec, exec, s[26:27]
	s_cbranch_execz .LBB2_10
.LBB2_17:                               ;   Parent Loop BB2_13 Depth=1
                                        ; =>  This Inner Loop Header: Depth=2
	v_ashrrev_i32_e32 v2, 31, v1
	v_lshlrev_b64 v[2:3], 1, v[1:2]
	v_mov_b32_e32 v7, s15
	v_add_co_u32_e32 v6, vcc, s14, v2
	v_addc_co_u32_e32 v7, vcc, v7, v3, vcc
	global_load_ushort v6, v[6:7], off
	s_waitcnt vmcnt(0)
	v_cvt_f32_f16_e32 v6, v6
	v_cvt_i32_f32_e32 v6, v6
	v_cmp_eq_u32_e32 vcc, 0, v6
	s_and_saveexec_b64 s[28:29], vcc
	s_cbranch_execz .LBB2_16
; %bb.18:                               ;   in Loop: Header=BB2_17 Depth=2
	v_mov_b32_e32 v6, s11
	v_add_co_u32_e32 v2, vcc, s10, v2
	v_addc_co_u32_e32 v3, vcc, v6, v3, vcc
	global_load_ushort v2, v[2:3], off
	s_waitcnt vmcnt(0)
	v_add_f16_e32 v2, v5, v2
	v_cvt_f32_f16_e32 v3, v2
	v_cmp_lt_f16_e32 vcc, 0, v2
	v_add_f32_e32 v3, v4, v3
	v_cndmask_b32_e32 v4, v4, v3, vcc
	s_branch .LBB2_16
.LBB2_19:
	v_mov_b32_e32 v4, 0
.LBB2_20:
	v_mbcnt_lo_u32_b32 v1, -1, 0
	v_mbcnt_hi_u32_b32 v6, -1, v1
	v_mov_b32_e32 v1, 0x80
	v_lshl_or_b32 v1, v6, 2, v1
	ds_bpermute_b32 v2, v1, v4
	v_and_b32_e32 v7, 63, v6
	v_cmp_gt_u32_e32 vcc, 48, v7
	v_cndmask_b32_e64 v3, 0, 16, vcc
	v_cmp_gt_u32_e32 vcc, 56, v7
	s_waitcnt lgkmcnt(0)
	v_add_f32_e32 v4, v4, v2
	v_add_lshl_u32 v2, v3, v6, 2
	ds_bpermute_b32 v5, v2, v4
	v_cndmask_b32_e64 v3, 0, 8, vcc
	v_add_lshl_u32 v3, v3, v6, 2
	v_cmp_gt_u32_e32 vcc, 60, v7
	s_waitcnt lgkmcnt(0)
	v_add_f32_e32 v5, v4, v5
	ds_bpermute_b32 v8, v3, v5
	v_cndmask_b32_e64 v4, 0, 4, vcc
	v_add_lshl_u32 v4, v4, v6, 2
	v_cmp_gt_u32_e32 vcc, 62, v7
	s_waitcnt lgkmcnt(0)
	s_barrier
	v_add_f32_e32 v8, v5, v8
	ds_bpermute_b32 v9, v4, v8
	v_cndmask_b32_e64 v5, 0, 2, vcc
	v_add_lshl_u32 v5, v5, v6, 2
	v_cmp_ne_u32_e32 vcc, 63, v7
	v_addc_co_u32_e32 v6, vcc, 0, v6, vcc
	s_waitcnt lgkmcnt(0)
	v_add_f32_e32 v9, v8, v9
	ds_bpermute_b32 v10, v5, v9
	v_lshlrev_b32_e32 v6, 2, v6
	v_and_b32_e32 v8, 63, v0
	v_cmp_eq_u32_e32 vcc, 0, v8
	s_waitcnt lgkmcnt(0)
	v_add_f32_e32 v7, v9, v10
	ds_bpermute_b32 v9, v6, v7
	s_and_saveexec_b64 s[2:3], vcc
	s_cbranch_execz .LBB2_22
; %bb.21:
	s_waitcnt lgkmcnt(0)
	v_add_f32_e32 v7, v7, v9
	v_lshrrev_b32_e32 v9, 4, v0
	ds_write_b32 v9, v7
.LBB2_22:
	s_or_b64 exec, exec, s[2:3]
	s_waitcnt lgkmcnt(0)
	s_barrier
	s_load_dword s2, s[4:5], 0x3c
	v_mov_b32_e32 v7, 0
	s_waitcnt lgkmcnt(0)
	s_bfe_u32 s2, s2, 0xa0006
	v_cmp_gt_u32_e32 vcc, s2, v0
	s_and_saveexec_b64 s[2:3], vcc
	s_cbranch_execnz .LBB2_26
; %bb.23:
	s_or_b64 exec, exec, s[2:3]
	v_cmp_gt_u32_e32 vcc, 64, v0
	s_and_saveexec_b64 s[2:3], vcc
	s_cbranch_execnz .LBB2_27
.LBB2_24:
	s_or_b64 exec, exec, s[2:3]
	s_and_saveexec_b64 s[2:3], s[0:1]
	s_cbranch_execnz .LBB2_28
.LBB2_25:
	s_endpgm
.LBB2_26:
	v_lshlrev_b32_e32 v7, 2, v8
	ds_read_b32 v7, v7
	s_or_b64 exec, exec, s[2:3]
	v_cmp_gt_u32_e32 vcc, 64, v0
	s_and_saveexec_b64 s[2:3], vcc
	s_cbranch_execz .LBB2_24
.LBB2_27:
	s_waitcnt lgkmcnt(0)
	ds_bpermute_b32 v0, v1, v7
	s_waitcnt lgkmcnt(0)
	v_add_f32_e32 v0, v7, v0
	ds_bpermute_b32 v1, v2, v0
	s_waitcnt lgkmcnt(0)
	v_add_f32_e32 v0, v0, v1
	;; [unrolled: 3-line block ×6, first 2 shown]
	s_or_b64 exec, exec, s[2:3]
	s_and_saveexec_b64 s[2:3], s[0:1]
	s_cbranch_execz .LBB2_25
.LBB2_28:
	v_cvt_f32_i32_e32 v0, s17
	s_bitcmp0_b32 s18, 0
	s_waitcnt lgkmcnt(0)
	v_div_scale_f32 v1, s[0:1], v0, v0, v7
	v_div_scale_f32 v2, vcc, v7, v0, v7
	v_rcp_f32_e32 v3, v1
	v_fma_f32 v4, -v1, v3, 1.0
	v_fmac_f32_e32 v3, v4, v3
	v_mul_f32_e32 v4, v2, v3
	v_fma_f32 v5, -v1, v4, v2
	v_fmac_f32_e32 v4, v5, v3
	v_fma_f32 v1, -v1, v4, v2
	v_div_fmas_f32 v1, v1, v3, v4
	v_div_fixup_f32 v0, v1, v0, v7
	s_cbranch_scc1 .LBB2_30
; %bb.29:
	v_cvt_f32_i32_e32 v1, s16
	v_div_scale_f32 v2, s[0:1], v1, v1, v0
	v_div_scale_f32 v3, vcc, v0, v1, v0
	v_rcp_f32_e32 v4, v2
	v_fma_f32 v5, -v2, v4, 1.0
	v_fmac_f32_e32 v4, v5, v4
	v_mul_f32_e32 v5, v3, v4
	v_fma_f32 v6, -v2, v5, v3
	v_fmac_f32_e32 v5, v6, v4
	v_fma_f32 v2, -v2, v5, v3
	v_div_fmas_f32 v2, v2, v4, v5
	v_div_fixup_f32 v0, v2, v1, v0
.LBB2_30:
	s_ashr_i32 s7, s6, 31
	v_cvt_f16_f32_e32 v0, v0
	s_lshl_b64 s[0:1], s[6:7], 1
	s_add_u32 s0, s8, s0
	s_addc_u32 s1, s9, s1
	v_mov_b32_e32 v1, 0
	global_store_short v1, v0, s[0:1]
	s_endpgm
	.section	.rodata,"a",@progbits
	.p2align	6, 0x0
	.amdhsa_kernel _ZN2at6native12_GLOBAL__N_137multilabel_margin_loss_forward_kernelIN3c104HalfEfEEvPT_PKS5_PKlS6_iib
		.amdhsa_group_segment_fixed_size 512
		.amdhsa_private_segment_fixed_size 0
		.amdhsa_kernarg_size 304
		.amdhsa_user_sgpr_count 6
		.amdhsa_user_sgpr_private_segment_buffer 1
		.amdhsa_user_sgpr_dispatch_ptr 0
		.amdhsa_user_sgpr_queue_ptr 0
		.amdhsa_user_sgpr_kernarg_segment_ptr 1
		.amdhsa_user_sgpr_dispatch_id 0
		.amdhsa_user_sgpr_flat_scratch_init 0
		.amdhsa_user_sgpr_private_segment_size 0
		.amdhsa_uses_dynamic_stack 0
		.amdhsa_system_sgpr_private_segment_wavefront_offset 0
		.amdhsa_system_sgpr_workgroup_id_x 1
		.amdhsa_system_sgpr_workgroup_id_y 0
		.amdhsa_system_sgpr_workgroup_id_z 0
		.amdhsa_system_sgpr_workgroup_info 0
		.amdhsa_system_vgpr_workitem_id 0
		.amdhsa_next_free_vgpr 11
		.amdhsa_next_free_sgpr 36
		.amdhsa_reserve_vcc 1
		.amdhsa_reserve_flat_scratch 0
		.amdhsa_float_round_mode_32 0
		.amdhsa_float_round_mode_16_64 0
		.amdhsa_float_denorm_mode_32 3
		.amdhsa_float_denorm_mode_16_64 3
		.amdhsa_dx10_clamp 1
		.amdhsa_ieee_mode 1
		.amdhsa_fp16_overflow 0
		.amdhsa_exception_fp_ieee_invalid_op 0
		.amdhsa_exception_fp_denorm_src 0
		.amdhsa_exception_fp_ieee_div_zero 0
		.amdhsa_exception_fp_ieee_overflow 0
		.amdhsa_exception_fp_ieee_underflow 0
		.amdhsa_exception_fp_ieee_inexact 0
		.amdhsa_exception_int_div_zero 0
	.end_amdhsa_kernel
	.section	.text._ZN2at6native12_GLOBAL__N_137multilabel_margin_loss_forward_kernelIN3c104HalfEfEEvPT_PKS5_PKlS6_iib,"axG",@progbits,_ZN2at6native12_GLOBAL__N_137multilabel_margin_loss_forward_kernelIN3c104HalfEfEEvPT_PKS5_PKlS6_iib,comdat
.Lfunc_end2:
	.size	_ZN2at6native12_GLOBAL__N_137multilabel_margin_loss_forward_kernelIN3c104HalfEfEEvPT_PKS5_PKlS6_iib, .Lfunc_end2-_ZN2at6native12_GLOBAL__N_137multilabel_margin_loss_forward_kernelIN3c104HalfEfEEvPT_PKS5_PKlS6_iib
                                        ; -- End function
	.set _ZN2at6native12_GLOBAL__N_137multilabel_margin_loss_forward_kernelIN3c104HalfEfEEvPT_PKS5_PKlS6_iib.num_vgpr, 11
	.set _ZN2at6native12_GLOBAL__N_137multilabel_margin_loss_forward_kernelIN3c104HalfEfEEvPT_PKS5_PKlS6_iib.num_agpr, 0
	.set _ZN2at6native12_GLOBAL__N_137multilabel_margin_loss_forward_kernelIN3c104HalfEfEEvPT_PKS5_PKlS6_iib.numbered_sgpr, 36
	.set _ZN2at6native12_GLOBAL__N_137multilabel_margin_loss_forward_kernelIN3c104HalfEfEEvPT_PKS5_PKlS6_iib.num_named_barrier, 0
	.set _ZN2at6native12_GLOBAL__N_137multilabel_margin_loss_forward_kernelIN3c104HalfEfEEvPT_PKS5_PKlS6_iib.private_seg_size, 0
	.set _ZN2at6native12_GLOBAL__N_137multilabel_margin_loss_forward_kernelIN3c104HalfEfEEvPT_PKS5_PKlS6_iib.uses_vcc, 1
	.set _ZN2at6native12_GLOBAL__N_137multilabel_margin_loss_forward_kernelIN3c104HalfEfEEvPT_PKS5_PKlS6_iib.uses_flat_scratch, 0
	.set _ZN2at6native12_GLOBAL__N_137multilabel_margin_loss_forward_kernelIN3c104HalfEfEEvPT_PKS5_PKlS6_iib.has_dyn_sized_stack, 0
	.set _ZN2at6native12_GLOBAL__N_137multilabel_margin_loss_forward_kernelIN3c104HalfEfEEvPT_PKS5_PKlS6_iib.has_recursion, 0
	.set _ZN2at6native12_GLOBAL__N_137multilabel_margin_loss_forward_kernelIN3c104HalfEfEEvPT_PKS5_PKlS6_iib.has_indirect_call, 0
	.section	.AMDGPU.csdata,"",@progbits
; Kernel info:
; codeLenInByte = 1296
; TotalNumSgprs: 40
; NumVgprs: 11
; ScratchSize: 0
; MemoryBound: 0
; FloatMode: 240
; IeeeMode: 1
; LDSByteSize: 512 bytes/workgroup (compile time only)
; SGPRBlocks: 4
; VGPRBlocks: 2
; NumSGPRsForWavesPerEU: 40
; NumVGPRsForWavesPerEU: 11
; Occupancy: 10
; WaveLimiterHint : 1
; COMPUTE_PGM_RSRC2:SCRATCH_EN: 0
; COMPUTE_PGM_RSRC2:USER_SGPR: 6
; COMPUTE_PGM_RSRC2:TRAP_HANDLER: 0
; COMPUTE_PGM_RSRC2:TGID_X_EN: 1
; COMPUTE_PGM_RSRC2:TGID_Y_EN: 0
; COMPUTE_PGM_RSRC2:TGID_Z_EN: 0
; COMPUTE_PGM_RSRC2:TIDIG_COMP_CNT: 0
	.section	.text._ZN2at6native12_GLOBAL__N_137multilabel_margin_loss_forward_kernelIN3c108BFloat16EfEEvPT_PKS5_PKlS6_iib,"axG",@progbits,_ZN2at6native12_GLOBAL__N_137multilabel_margin_loss_forward_kernelIN3c108BFloat16EfEEvPT_PKS5_PKlS6_iib,comdat
	.globl	_ZN2at6native12_GLOBAL__N_137multilabel_margin_loss_forward_kernelIN3c108BFloat16EfEEvPT_PKS5_PKlS6_iib ; -- Begin function _ZN2at6native12_GLOBAL__N_137multilabel_margin_loss_forward_kernelIN3c108BFloat16EfEEvPT_PKS5_PKlS6_iib
	.p2align	8
	.type	_ZN2at6native12_GLOBAL__N_137multilabel_margin_loss_forward_kernelIN3c108BFloat16EfEEvPT_PKS5_PKlS6_iib,@function
_ZN2at6native12_GLOBAL__N_137multilabel_margin_loss_forward_kernelIN3c108BFloat16EfEEvPT_PKS5_PKlS6_iib: ; @_ZN2at6native12_GLOBAL__N_137multilabel_margin_loss_forward_kernelIN3c108BFloat16EfEEvPT_PKS5_PKlS6_iib
; %bb.0:
	s_load_dwordx4 s[16:19], s[4:5], 0x20
	s_load_dwordx8 s[8:15], s[4:5], 0x0
	s_waitcnt lgkmcnt(0)
	s_mul_i32 s0, s17, s6
	s_ashr_i32 s1, s0, 31
	s_lshl_b64 s[20:21], s[0:1], 1
	s_add_u32 s14, s14, s20
	s_addc_u32 s15, s15, s21
	v_cmp_gt_i32_e64 s[2:3], s17, v0
	s_and_saveexec_b64 s[22:23], s[2:3]
	s_cbranch_execz .LBB3_3
; %bb.1:
	s_load_dword s7, s[4:5], 0x3c
	s_mov_b64 s[24:25], 0
	v_mov_b32_e32 v3, s15
	v_mov_b32_e32 v4, 0
	;; [unrolled: 1-line block ×3, first 2 shown]
	s_waitcnt lgkmcnt(0)
	s_and_b32 s7, s7, 0xffff
.LBB3_2:                                ; =>This Inner Loop Header: Depth=1
	v_ashrrev_i32_e32 v2, 31, v1
	v_lshlrev_b64 v[5:6], 1, v[1:2]
	v_add_u32_e32 v1, s7, v1
	v_add_co_u32_e32 v5, vcc, s14, v5
	v_addc_co_u32_e32 v6, vcc, v3, v6, vcc
	v_cmp_le_i32_e32 vcc, s17, v1
	s_or_b64 s[24:25], vcc, s[24:25]
	global_store_short v[5:6], v4, off
	s_andn2_b64 exec, exec, s[24:25]
	s_cbranch_execnz .LBB3_2
.LBB3_3:
	s_or_b64 exec, exec, s[22:23]
	s_lshl_b64 s[0:1], s[0:1], 3
	s_add_u32 s12, s12, s0
	s_addc_u32 s13, s13, s1
	s_cmp_gt_i32 s17, 0
	v_cmp_eq_u32_e64 s[0:1], 0, v0
	s_cselect_b64 s[22:23], -1, 0
	s_mov_b32 s25, 0
	s_and_b64 s[28:29], s[0:1], s[22:23]
	s_waitcnt vmcnt(0)
	s_barrier
	s_and_saveexec_b64 s[26:27], s[28:29]
	s_cbranch_execz .LBB3_8
; %bb.4:
	v_mov_b32_e32 v1, 0x3f80
	s_mov_b64 s[28:29], s[12:13]
	s_mov_b32 s7, s17
	s_branch .LBB3_6
.LBB3_5:                                ;   in Loop: Header=BB3_6 Depth=1
	s_andn2_b64 vcc, exec, s[30:31]
	s_cbranch_vccz .LBB3_8
.LBB3_6:                                ; =>This Inner Loop Header: Depth=1
	s_load_dwordx2 s[34:35], s[28:29], 0x0
	s_mov_b64 s[30:31], -1
	s_waitcnt lgkmcnt(0)
	s_and_b32 s24, s34, 0x80000000
	s_cmp_lg_u64 s[24:25], 0
	s_cbranch_scc1 .LBB3_5
; %bb.7:                                ;   in Loop: Header=BB3_6 Depth=1
	s_lshl_b32 s19, s34, 1
	s_add_i32 s7, s7, -1
	s_add_u32 s28, s28, 8
	s_addc_u32 s29, s29, 0
	s_cmp_eq_u32 s7, 0
	v_mov_b32_e32 v2, s19
	s_cselect_b64 s[30:31], -1, 0
	global_store_short v2, v1, s[14:15]
	s_branch .LBB3_5
.LBB3_8:
	s_or_b64 exec, exec, s[26:27]
	s_andn2_b64 vcc, exec, s[22:23]
	s_waitcnt vmcnt(0)
	s_barrier
	s_cbranch_vccnz .LBB3_19
; %bb.9:
	s_add_u32 s10, s10, s20
	s_addc_u32 s11, s11, s21
	s_add_u32 s20, s4, 48
	s_mov_b32 s23, 0
	s_addc_u32 s21, s5, 0
	v_mov_b32_e32 v4, 0
	s_movk_i32 s7, 0x7fff
	v_mov_b32_e32 v5, 0x7fc00000
	s_mov_b32 s22, s23
	s_branch .LBB3_13
.LBB3_10:                               ;   in Loop: Header=BB3_13 Depth=1
	s_or_b64 exec, exec, s[26:27]
.LBB3_11:                               ;   in Loop: Header=BB3_13 Depth=1
	s_or_b64 exec, exec, s[24:25]
	s_add_i32 s22, s22, 1
	s_cmp_eq_u32 s22, s17
	s_cselect_b64 s[24:25], -1, 0
.LBB3_12:                               ;   in Loop: Header=BB3_13 Depth=1
	s_and_b64 vcc, exec, s[24:25]
	s_cbranch_vccnz .LBB3_20
.LBB3_13:                               ; =>This Loop Header: Depth=1
                                        ;     Child Loop BB3_17 Depth 2
	s_lshl_b64 s[24:25], s[22:23], 3
	s_add_u32 s24, s12, s24
	s_addc_u32 s25, s13, s25
	s_load_dwordx2 s[26:27], s[24:25], 0x0
	s_mov_b32 s25, s23
	s_waitcnt lgkmcnt(0)
	s_and_b32 s24, s26, 0x80000000
	s_cmp_lg_u64 s[24:25], 0
	s_mov_b64 s[24:25], -1
	s_cbranch_scc1 .LBB3_12
; %bb.14:                               ;   in Loop: Header=BB3_13 Depth=1
	s_and_saveexec_b64 s[24:25], s[2:3]
	s_cbranch_execz .LBB3_11
; %bb.15:                               ;   in Loop: Header=BB3_13 Depth=1
	s_lshl_b32 s19, s26, 1
	v_mov_b32_e32 v1, s19
	global_load_ushort v1, v1, s[10:11]
	s_load_dword s19, s[20:21], 0xc
	s_mov_b64 s[26:27], 0
	s_waitcnt lgkmcnt(0)
	s_and_b32 s19, s19, 0xffff
	s_waitcnt vmcnt(0)
	v_lshlrev_b32_e32 v1, 16, v1
	v_sub_f32_e32 v1, 1.0, v1
	v_bfe_u32 v2, v1, 16, 1
	v_add_u32_e32 v2, v1, v2
	v_add_u32_e32 v2, 0x7fff, v2
	v_and_b32_e32 v2, 0xffff0000, v2
	v_cmp_o_f32_e32 vcc, v1, v1
	v_cndmask_b32_e32 v6, v5, v2, vcc
	v_mov_b32_e32 v1, v0
	s_branch .LBB3_17
.LBB3_16:                               ;   in Loop: Header=BB3_17 Depth=2
	s_or_b64 exec, exec, s[28:29]
	v_add_u32_e32 v1, s19, v1
	v_cmp_le_i32_e32 vcc, s17, v1
	s_or_b64 s[26:27], vcc, s[26:27]
	s_andn2_b64 exec, exec, s[26:27]
	s_cbranch_execz .LBB3_10
.LBB3_17:                               ;   Parent Loop BB3_13 Depth=1
                                        ; =>  This Inner Loop Header: Depth=2
	v_ashrrev_i32_e32 v2, 31, v1
	v_lshlrev_b64 v[2:3], 1, v[1:2]
	v_mov_b32_e32 v8, s15
	v_add_co_u32_e32 v7, vcc, s14, v2
	v_addc_co_u32_e32 v8, vcc, v8, v3, vcc
	global_load_ushort v7, v[7:8], off
	s_waitcnt vmcnt(0)
	v_lshlrev_b32_e32 v7, 16, v7
	v_cvt_i32_f32_e32 v7, v7
	v_cmp_eq_u32_e32 vcc, 0, v7
	s_and_saveexec_b64 s[28:29], vcc
	s_cbranch_execz .LBB3_16
; %bb.18:                               ;   in Loop: Header=BB3_17 Depth=2
	v_mov_b32_e32 v7, s11
	v_add_co_u32_e32 v2, vcc, s10, v2
	v_addc_co_u32_e32 v3, vcc, v7, v3, vcc
	global_load_ushort v2, v[2:3], off
	s_waitcnt vmcnt(0)
	v_lshlrev_b32_e32 v2, 16, v2
	v_add_f32_e32 v2, v6, v2
	v_bfe_u32 v3, v2, 16, 1
	v_add3_u32 v3, v2, v3, s7
	v_and_b32_e32 v3, 0xffff0000, v3
	v_cmp_o_f32_e32 vcc, v2, v2
	v_cndmask_b32_e32 v2, v5, v3, vcc
	v_add_f32_e32 v3, v4, v2
	v_cmp_lt_f32_e32 vcc, 0, v2
	v_cndmask_b32_e32 v4, v4, v3, vcc
	s_branch .LBB3_16
.LBB3_19:
	v_mov_b32_e32 v4, 0
.LBB3_20:
	v_mbcnt_lo_u32_b32 v1, -1, 0
	v_mbcnt_hi_u32_b32 v6, -1, v1
	v_mov_b32_e32 v1, 0x80
	v_lshl_or_b32 v1, v6, 2, v1
	ds_bpermute_b32 v2, v1, v4
	v_and_b32_e32 v7, 63, v6
	v_cmp_gt_u32_e32 vcc, 48, v7
	v_cndmask_b32_e64 v3, 0, 16, vcc
	v_cmp_gt_u32_e32 vcc, 56, v7
	s_waitcnt lgkmcnt(0)
	v_add_f32_e32 v4, v4, v2
	v_add_lshl_u32 v2, v3, v6, 2
	ds_bpermute_b32 v5, v2, v4
	v_cndmask_b32_e64 v3, 0, 8, vcc
	v_add_lshl_u32 v3, v3, v6, 2
	v_cmp_gt_u32_e32 vcc, 60, v7
	s_waitcnt lgkmcnt(0)
	v_add_f32_e32 v5, v4, v5
	ds_bpermute_b32 v8, v3, v5
	v_cndmask_b32_e64 v4, 0, 4, vcc
	v_add_lshl_u32 v4, v4, v6, 2
	v_cmp_gt_u32_e32 vcc, 62, v7
	s_waitcnt lgkmcnt(0)
	s_barrier
	v_add_f32_e32 v8, v5, v8
	ds_bpermute_b32 v9, v4, v8
	v_cndmask_b32_e64 v5, 0, 2, vcc
	v_add_lshl_u32 v5, v5, v6, 2
	v_cmp_ne_u32_e32 vcc, 63, v7
	v_addc_co_u32_e32 v6, vcc, 0, v6, vcc
	s_waitcnt lgkmcnt(0)
	v_add_f32_e32 v9, v8, v9
	ds_bpermute_b32 v10, v5, v9
	v_lshlrev_b32_e32 v6, 2, v6
	v_and_b32_e32 v8, 63, v0
	v_cmp_eq_u32_e32 vcc, 0, v8
	s_waitcnt lgkmcnt(0)
	v_add_f32_e32 v7, v9, v10
	ds_bpermute_b32 v9, v6, v7
	s_and_saveexec_b64 s[2:3], vcc
	s_cbranch_execz .LBB3_22
; %bb.21:
	s_waitcnt lgkmcnt(0)
	v_add_f32_e32 v7, v7, v9
	v_lshrrev_b32_e32 v9, 4, v0
	ds_write_b32 v9, v7
.LBB3_22:
	s_or_b64 exec, exec, s[2:3]
	s_waitcnt lgkmcnt(0)
	s_barrier
	s_load_dword s2, s[4:5], 0x3c
	v_mov_b32_e32 v7, 0
	s_waitcnt lgkmcnt(0)
	s_bfe_u32 s2, s2, 0xa0006
	v_cmp_gt_u32_e32 vcc, s2, v0
	s_and_saveexec_b64 s[2:3], vcc
	s_cbranch_execnz .LBB3_26
; %bb.23:
	s_or_b64 exec, exec, s[2:3]
	v_cmp_gt_u32_e32 vcc, 64, v0
	s_and_saveexec_b64 s[2:3], vcc
	s_cbranch_execnz .LBB3_27
.LBB3_24:
	s_or_b64 exec, exec, s[2:3]
	s_and_saveexec_b64 s[2:3], s[0:1]
	s_cbranch_execnz .LBB3_28
.LBB3_25:
	s_endpgm
.LBB3_26:
	v_lshlrev_b32_e32 v7, 2, v8
	ds_read_b32 v7, v7
	s_or_b64 exec, exec, s[2:3]
	v_cmp_gt_u32_e32 vcc, 64, v0
	s_and_saveexec_b64 s[2:3], vcc
	s_cbranch_execz .LBB3_24
.LBB3_27:
	s_waitcnt lgkmcnt(0)
	ds_bpermute_b32 v0, v1, v7
	s_waitcnt lgkmcnt(0)
	v_add_f32_e32 v0, v7, v0
	ds_bpermute_b32 v1, v2, v0
	s_waitcnt lgkmcnt(0)
	v_add_f32_e32 v0, v0, v1
	;; [unrolled: 3-line block ×6, first 2 shown]
	s_or_b64 exec, exec, s[2:3]
	s_and_saveexec_b64 s[2:3], s[0:1]
	s_cbranch_execz .LBB3_25
.LBB3_28:
	v_cvt_f32_i32_e32 v0, s17
	s_bitcmp0_b32 s18, 0
	s_waitcnt lgkmcnt(0)
	v_div_scale_f32 v1, s[0:1], v0, v0, v7
	v_div_scale_f32 v2, vcc, v7, v0, v7
	v_rcp_f32_e32 v3, v1
	v_fma_f32 v4, -v1, v3, 1.0
	v_fmac_f32_e32 v3, v4, v3
	v_mul_f32_e32 v4, v2, v3
	v_fma_f32 v5, -v1, v4, v2
	v_fmac_f32_e32 v4, v5, v3
	v_fma_f32 v1, -v1, v4, v2
	v_div_fmas_f32 v1, v1, v3, v4
	v_div_fixup_f32 v0, v1, v0, v7
	s_cbranch_scc1 .LBB3_30
; %bb.29:
	v_cvt_f32_i32_e32 v1, s16
	v_div_scale_f32 v2, s[0:1], v1, v1, v0
	v_div_scale_f32 v3, vcc, v0, v1, v0
	v_rcp_f32_e32 v4, v2
	v_fma_f32 v5, -v2, v4, 1.0
	v_fmac_f32_e32 v4, v5, v4
	v_mul_f32_e32 v5, v3, v4
	v_fma_f32 v6, -v2, v5, v3
	v_fmac_f32_e32 v5, v6, v4
	v_fma_f32 v2, -v2, v5, v3
	v_div_fmas_f32 v2, v2, v4, v5
	v_div_fixup_f32 v0, v2, v1, v0
.LBB3_30:
	s_ashr_i32 s7, s6, 31
	s_lshl_b64 s[0:1], s[6:7], 1
	v_bfe_u32 v2, v0, 16, 1
	s_movk_i32 s2, 0x7fff
	s_add_u32 s0, s8, s0
	v_add3_u32 v2, v0, v2, s2
	v_cmp_o_f32_e32 vcc, v0, v0
	v_mov_b32_e32 v0, 0x7fc0
	s_addc_u32 s1, s9, s1
	v_mov_b32_e32 v1, 0
	v_cndmask_b32_sdwa v0, v0, v2, vcc dst_sel:DWORD dst_unused:UNUSED_PAD src0_sel:DWORD src1_sel:WORD_1
	global_store_short v1, v0, s[0:1]
	s_endpgm
	.section	.rodata,"a",@progbits
	.p2align	6, 0x0
	.amdhsa_kernel _ZN2at6native12_GLOBAL__N_137multilabel_margin_loss_forward_kernelIN3c108BFloat16EfEEvPT_PKS5_PKlS6_iib
		.amdhsa_group_segment_fixed_size 512
		.amdhsa_private_segment_fixed_size 0
		.amdhsa_kernarg_size 304
		.amdhsa_user_sgpr_count 6
		.amdhsa_user_sgpr_private_segment_buffer 1
		.amdhsa_user_sgpr_dispatch_ptr 0
		.amdhsa_user_sgpr_queue_ptr 0
		.amdhsa_user_sgpr_kernarg_segment_ptr 1
		.amdhsa_user_sgpr_dispatch_id 0
		.amdhsa_user_sgpr_flat_scratch_init 0
		.amdhsa_user_sgpr_private_segment_size 0
		.amdhsa_uses_dynamic_stack 0
		.amdhsa_system_sgpr_private_segment_wavefront_offset 0
		.amdhsa_system_sgpr_workgroup_id_x 1
		.amdhsa_system_sgpr_workgroup_id_y 0
		.amdhsa_system_sgpr_workgroup_id_z 0
		.amdhsa_system_sgpr_workgroup_info 0
		.amdhsa_system_vgpr_workitem_id 0
		.amdhsa_next_free_vgpr 11
		.amdhsa_next_free_sgpr 36
		.amdhsa_reserve_vcc 1
		.amdhsa_reserve_flat_scratch 0
		.amdhsa_float_round_mode_32 0
		.amdhsa_float_round_mode_16_64 0
		.amdhsa_float_denorm_mode_32 3
		.amdhsa_float_denorm_mode_16_64 3
		.amdhsa_dx10_clamp 1
		.amdhsa_ieee_mode 1
		.amdhsa_fp16_overflow 0
		.amdhsa_exception_fp_ieee_invalid_op 0
		.amdhsa_exception_fp_denorm_src 0
		.amdhsa_exception_fp_ieee_div_zero 0
		.amdhsa_exception_fp_ieee_overflow 0
		.amdhsa_exception_fp_ieee_underflow 0
		.amdhsa_exception_fp_ieee_inexact 0
		.amdhsa_exception_int_div_zero 0
	.end_amdhsa_kernel
	.section	.text._ZN2at6native12_GLOBAL__N_137multilabel_margin_loss_forward_kernelIN3c108BFloat16EfEEvPT_PKS5_PKlS6_iib,"axG",@progbits,_ZN2at6native12_GLOBAL__N_137multilabel_margin_loss_forward_kernelIN3c108BFloat16EfEEvPT_PKS5_PKlS6_iib,comdat
.Lfunc_end3:
	.size	_ZN2at6native12_GLOBAL__N_137multilabel_margin_loss_forward_kernelIN3c108BFloat16EfEEvPT_PKS5_PKlS6_iib, .Lfunc_end3-_ZN2at6native12_GLOBAL__N_137multilabel_margin_loss_forward_kernelIN3c108BFloat16EfEEvPT_PKS5_PKlS6_iib
                                        ; -- End function
	.set _ZN2at6native12_GLOBAL__N_137multilabel_margin_loss_forward_kernelIN3c108BFloat16EfEEvPT_PKS5_PKlS6_iib.num_vgpr, 11
	.set _ZN2at6native12_GLOBAL__N_137multilabel_margin_loss_forward_kernelIN3c108BFloat16EfEEvPT_PKS5_PKlS6_iib.num_agpr, 0
	.set _ZN2at6native12_GLOBAL__N_137multilabel_margin_loss_forward_kernelIN3c108BFloat16EfEEvPT_PKS5_PKlS6_iib.numbered_sgpr, 36
	.set _ZN2at6native12_GLOBAL__N_137multilabel_margin_loss_forward_kernelIN3c108BFloat16EfEEvPT_PKS5_PKlS6_iib.num_named_barrier, 0
	.set _ZN2at6native12_GLOBAL__N_137multilabel_margin_loss_forward_kernelIN3c108BFloat16EfEEvPT_PKS5_PKlS6_iib.private_seg_size, 0
	.set _ZN2at6native12_GLOBAL__N_137multilabel_margin_loss_forward_kernelIN3c108BFloat16EfEEvPT_PKS5_PKlS6_iib.uses_vcc, 1
	.set _ZN2at6native12_GLOBAL__N_137multilabel_margin_loss_forward_kernelIN3c108BFloat16EfEEvPT_PKS5_PKlS6_iib.uses_flat_scratch, 0
	.set _ZN2at6native12_GLOBAL__N_137multilabel_margin_loss_forward_kernelIN3c108BFloat16EfEEvPT_PKS5_PKlS6_iib.has_dyn_sized_stack, 0
	.set _ZN2at6native12_GLOBAL__N_137multilabel_margin_loss_forward_kernelIN3c108BFloat16EfEEvPT_PKS5_PKlS6_iib.has_recursion, 0
	.set _ZN2at6native12_GLOBAL__N_137multilabel_margin_loss_forward_kernelIN3c108BFloat16EfEEvPT_PKS5_PKlS6_iib.has_indirect_call, 0
	.section	.AMDGPU.csdata,"",@progbits
; Kernel info:
; codeLenInByte = 1416
; TotalNumSgprs: 40
; NumVgprs: 11
; ScratchSize: 0
; MemoryBound: 0
; FloatMode: 240
; IeeeMode: 1
; LDSByteSize: 512 bytes/workgroup (compile time only)
; SGPRBlocks: 4
; VGPRBlocks: 2
; NumSGPRsForWavesPerEU: 40
; NumVGPRsForWavesPerEU: 11
; Occupancy: 10
; WaveLimiterHint : 1
; COMPUTE_PGM_RSRC2:SCRATCH_EN: 0
; COMPUTE_PGM_RSRC2:USER_SGPR: 6
; COMPUTE_PGM_RSRC2:TRAP_HANDLER: 0
; COMPUTE_PGM_RSRC2:TGID_X_EN: 1
; COMPUTE_PGM_RSRC2:TGID_Y_EN: 0
; COMPUTE_PGM_RSRC2:TGID_Z_EN: 0
; COMPUTE_PGM_RSRC2:TIDIG_COMP_CNT: 0
	.section	.text._ZN2at6native12_GLOBAL__N_138multilabel_margin_loss_backward_kernelIddEEvPT_PKS3_S6_PKlS6_iibb,"axG",@progbits,_ZN2at6native12_GLOBAL__N_138multilabel_margin_loss_backward_kernelIddEEvPT_PKS3_S6_PKlS6_iibb,comdat
	.globl	_ZN2at6native12_GLOBAL__N_138multilabel_margin_loss_backward_kernelIddEEvPT_PKS3_S6_PKlS6_iibb ; -- Begin function _ZN2at6native12_GLOBAL__N_138multilabel_margin_loss_backward_kernelIddEEvPT_PKS3_S6_PKlS6_iibb
	.p2align	8
	.type	_ZN2at6native12_GLOBAL__N_138multilabel_margin_loss_backward_kernelIddEEvPT_PKS3_S6_PKlS6_iibb,@function
_ZN2at6native12_GLOBAL__N_138multilabel_margin_loss_backward_kernelIddEEvPT_PKS3_S6_PKlS6_iibb: ; @_ZN2at6native12_GLOBAL__N_138multilabel_margin_loss_backward_kernelIddEEvPT_PKS3_S6_PKlS6_iibb
; %bb.0:
	s_load_dwordx4 s[20:23], s[4:5], 0x28
	s_load_dwordx8 s[12:19], s[4:5], 0x0
	s_load_dwordx2 s[2:3], s[4:5], 0x20
	s_waitcnt lgkmcnt(0)
	s_mul_i32 s0, s21, s6
	s_ashr_i32 s1, s0, 31
	s_lshl_b64 s[8:9], s[0:1], 3
	s_add_u32 s7, s12, s8
	s_addc_u32 s33, s13, s9
	v_cmp_gt_i32_e64 s[0:1], s21, v0
	s_and_saveexec_b64 s[10:11], s[0:1]
	s_cbranch_execz .LBB4_3
; %bb.1:
	s_load_dword s23, s[4:5], 0x44
	v_mov_b32_e32 v1, 0
	s_mov_b64 s[12:13], 0
	v_mov_b32_e32 v5, s33
	v_mov_b32_e32 v2, v1
	s_waitcnt lgkmcnt(0)
	s_and_b32 s23, s23, 0xffff
	v_mov_b32_e32 v3, v0
.LBB4_2:                                ; =>This Inner Loop Header: Depth=1
	v_ashrrev_i32_e32 v4, 31, v3
	v_lshlrev_b64 v[6:7], 3, v[3:4]
	v_add_u32_e32 v3, s23, v3
	v_add_co_u32_e32 v6, vcc, s7, v6
	v_addc_co_u32_e32 v7, vcc, v5, v7, vcc
	v_cmp_le_i32_e32 vcc, s21, v3
	s_or_b64 s[12:13], vcc, s[12:13]
	global_store_dwordx2 v[6:7], v[1:2], off
	s_andn2_b64 exec, exec, s[12:13]
	s_cbranch_execnz .LBB4_2
.LBB4_3:
	s_or_b64 exec, exec, s[10:11]
	s_load_dword s10, s[4:5], 0x30
	s_waitcnt vmcnt(0) lgkmcnt(0)
	s_barrier
	s_bitcmp1_b32 s10, 8
	s_cselect_b64 s[12:13], -1, 0
	s_cmp_lt_i32 s21, 1
	s_cbranch_scc1 .LBB4_24
; %bb.4:
	s_bitcmp1_b32 s22, 0
	s_cselect_b64 s[10:11], -1, 0
	s_add_u32 s34, s16, s8
	s_addc_u32 s35, s17, s9
	s_add_u32 s36, s18, s8
	s_addc_u32 s37, s19, s9
	;; [unrolled: 2-line block ×3, first 2 shown]
	s_and_b64 s[2:3], s[10:11], s[12:13]
	s_and_b64 s[2:3], s[2:3], exec
	s_cselect_b32 s2, s20, 1
	s_mul_i32 s2, s2, s21
	v_cvt_f64_i32_e32 v[1:2], s2
	s_mov_b32 s17, 0
	s_add_u32 s18, s4, 56
	v_lshrrev_b32_e32 v12, 3, v0
	v_div_scale_f64 v[3:4], s[2:3], v[1:2], v[1:2], 1.0
	s_addc_u32 s19, s5, 0
	v_cmp_gt_u32_e64 s[10:11], 64, v0
	v_cmp_eq_u32_e64 s[8:9], 0, v0
	s_mov_b32 s22, s17
	v_rcp_f64_e32 v[5:6], v[3:4]
	v_fma_f64 v[7:8], -v[3:4], v[5:6], 1.0
	v_fma_f64 v[5:6], v[5:6], v[7:8], v[5:6]
	v_div_scale_f64 v[7:8], vcc, 1.0, v[1:2], 1.0
	v_fma_f64 v[9:10], -v[3:4], v[5:6], 1.0
	v_fma_f64 v[5:6], v[5:6], v[9:10], v[5:6]
	v_mul_f64 v[9:10], v[7:8], v[5:6]
	v_fma_f64 v[3:4], -v[3:4], v[9:10], v[7:8]
	v_div_fmas_f64 v[3:4], v[3:4], v[5:6], v[9:10]
	v_and_b32_e32 v5, 63, v0
	v_cmp_eq_u32_e64 s[2:3], 0, v5
	v_lshlrev_b32_e32 v13, 3, v5
	v_div_fixup_f64 v[1:2], v[3:4], v[1:2], 1.0
	v_mbcnt_lo_u32_b32 v3, -1, 0
	v_mbcnt_hi_u32_b32 v14, -1, v3
	v_mov_b32_e32 v3, 0x80
	v_mov_b32_e32 v4, 0
	v_lshl_or_b32 v15, v14, 2, v3
	s_branch .LBB4_7
.LBB4_5:                                ;   in Loop: Header=BB4_7 Depth=1
	s_or_b64 exec, exec, s[24:25]
	s_add_i32 s22, s22, 1
	s_cmp_eq_u32 s22, s21
	s_cselect_b64 s[24:25], -1, 0
.LBB4_6:                                ;   in Loop: Header=BB4_7 Depth=1
	s_and_b64 vcc, exec, s[24:25]
	s_cbranch_vccnz .LBB4_24
.LBB4_7:                                ; =>This Loop Header: Depth=1
                                        ;     Child Loop BB4_12 Depth 2
	s_mov_b32 s23, s17
	s_lshl_b64 s[24:25], s[22:23], 3
	s_add_u32 s24, s36, s24
	s_addc_u32 s25, s37, s25
	s_waitcnt lgkmcnt(0)
	global_load_dwordx2 v[5:6], v4, s[24:25]
	s_mov_b64 s[24:25], -1
	s_waitcnt vmcnt(0)
	v_and_b32_e32 v3, 0x80000000, v5
	v_cmp_ne_u64_e32 vcc, 0, v[3:4]
	v_readfirstlane_b32 s16, v5
	s_cbranch_vccnz .LBB4_6
; %bb.8:                                ;   in Loop: Header=BB4_7 Depth=1
	v_mov_b32_e32 v5, 0
	v_mov_b32_e32 v6, 0
	s_bitset0_b32 s16, 31
	s_and_saveexec_b64 s[24:25], s[0:1]
	s_cbranch_execz .LBB4_16
; %bb.9:                                ;   in Loop: Header=BB4_7 Depth=1
	s_lshl_b64 s[26:27], s[16:17], 3
	s_add_u32 s26, s34, s26
	s_addc_u32 s27, s35, s27
	global_load_dwordx2 v[5:6], v4, s[26:27]
	s_load_dword s20, s[18:19], 0xc
	s_mov_b64 s[26:27], 0
	v_mov_b32_e32 v9, v0
	s_waitcnt lgkmcnt(0)
	s_and_b32 s20, s20, 0xffff
	s_waitcnt vmcnt(0)
	v_add_f64 v[7:8], -v[5:6], 1.0
	v_mov_b32_e32 v5, 0
	v_mov_b32_e32 v6, 0
	s_branch .LBB4_12
.LBB4_10:                               ;   in Loop: Header=BB4_12 Depth=2
	s_or_b64 exec, exec, s[30:31]
.LBB4_11:                               ;   in Loop: Header=BB4_12 Depth=2
	s_or_b64 exec, exec, s[28:29]
	v_add_u32_e32 v9, s20, v9
	v_cmp_le_i32_e32 vcc, s21, v9
	s_or_b64 s[26:27], vcc, s[26:27]
	s_andn2_b64 exec, exec, s[26:27]
	s_cbranch_execz .LBB4_15
.LBB4_12:                               ;   Parent Loop BB4_7 Depth=1
                                        ; =>  This Inner Loop Header: Depth=2
	v_ashrrev_i32_e32 v10, 31, v9
	v_lshlrev_b64 v[10:11], 3, v[9:10]
	v_mov_b32_e32 v3, s39
	v_add_co_u32_e32 v16, vcc, s38, v10
	v_addc_co_u32_e32 v17, vcc, v3, v11, vcc
	global_load_dwordx2 v[16:17], v[16:17], off
	s_waitcnt vmcnt(0)
	v_cvt_i32_f64_e32 v3, v[16:17]
	v_cmp_eq_u32_e32 vcc, 0, v3
	s_and_saveexec_b64 s[28:29], vcc
	s_cbranch_execz .LBB4_11
; %bb.13:                               ;   in Loop: Header=BB4_12 Depth=2
	v_mov_b32_e32 v3, s35
	v_add_co_u32_e32 v16, vcc, s34, v10
	v_addc_co_u32_e32 v17, vcc, v3, v11, vcc
	global_load_dwordx2 v[16:17], v[16:17], off
	s_waitcnt vmcnt(0)
	v_add_f64 v[16:17], v[7:8], v[16:17]
	v_cmp_lt_f64_e32 vcc, 0, v[16:17]
	s_and_saveexec_b64 s[30:31], vcc
	s_cbranch_execz .LBB4_10
; %bb.14:                               ;   in Loop: Header=BB4_12 Depth=2
	v_mov_b32_e32 v3, s33
	v_add_co_u32_e32 v10, vcc, s7, v10
	v_addc_co_u32_e32 v11, vcc, v3, v11, vcc
	global_load_dwordx2 v[16:17], v[10:11], off
	v_add_f64 v[5:6], v[5:6], -v[1:2]
	s_waitcnt vmcnt(0)
	v_add_f64 v[16:17], v[1:2], v[16:17]
	global_store_dwordx2 v[10:11], v[16:17], off
	s_branch .LBB4_10
.LBB4_15:                               ;   in Loop: Header=BB4_7 Depth=1
	s_or_b64 exec, exec, s[26:27]
.LBB4_16:                               ;   in Loop: Header=BB4_7 Depth=1
	s_or_b64 exec, exec, s[24:25]
	ds_bpermute_b32 v7, v15, v5
	ds_bpermute_b32 v8, v15, v6
	v_and_b32_e32 v16, 63, v14
	v_cmp_gt_u32_e32 vcc, 48, v16
	v_cndmask_b32_e64 v3, 0, 16, vcc
	v_add_lshl_u32 v3, v3, v14, 2
	s_waitcnt lgkmcnt(0)
	v_add_f64 v[5:6], v[5:6], v[7:8]
	v_cmp_gt_u32_e32 vcc, 56, v16
	s_waitcnt vmcnt(0)
	s_barrier
	s_barrier
	ds_bpermute_b32 v7, v3, v5
	ds_bpermute_b32 v8, v3, v6
	s_waitcnt lgkmcnt(0)
	v_add_f64 v[5:6], v[5:6], v[7:8]
	v_cndmask_b32_e64 v7, 0, 8, vcc
	v_add_lshl_u32 v9, v7, v14, 2
	v_cmp_gt_u32_e32 vcc, 60, v16
	ds_bpermute_b32 v7, v9, v5
	ds_bpermute_b32 v8, v9, v6
	s_waitcnt lgkmcnt(0)
	v_add_f64 v[5:6], v[5:6], v[7:8]
	v_cndmask_b32_e64 v7, 0, 4, vcc
	v_add_lshl_u32 v10, v7, v14, 2
	v_cmp_gt_u32_e32 vcc, 62, v16
	ds_bpermute_b32 v7, v10, v5
	ds_bpermute_b32 v8, v10, v6
	s_waitcnt lgkmcnt(0)
	v_add_f64 v[5:6], v[5:6], v[7:8]
	v_cndmask_b32_e64 v7, 0, 2, vcc
	v_add_lshl_u32 v11, v7, v14, 2
	v_cmp_ne_u32_e32 vcc, 63, v16
	ds_bpermute_b32 v7, v11, v5
	ds_bpermute_b32 v8, v11, v6
	s_waitcnt lgkmcnt(0)
	v_add_f64 v[5:6], v[5:6], v[7:8]
	v_addc_co_u32_e32 v7, vcc, 0, v14, vcc
	v_lshlrev_b32_e32 v16, 2, v7
	ds_bpermute_b32 v7, v16, v5
	ds_bpermute_b32 v8, v16, v6
	s_and_saveexec_b64 s[24:25], s[2:3]
	s_cbranch_execz .LBB4_18
; %bb.17:                               ;   in Loop: Header=BB4_7 Depth=1
	s_waitcnt lgkmcnt(0)
	v_add_f64 v[5:6], v[5:6], v[7:8]
	ds_write_b64 v12, v[5:6]
.LBB4_18:                               ;   in Loop: Header=BB4_7 Depth=1
	s_or_b64 exec, exec, s[24:25]
	s_waitcnt lgkmcnt(0)
	s_barrier
	s_load_dword s20, s[18:19], 0xc
	v_mov_b32_e32 v5, 0
	v_mov_b32_e32 v6, 0
	s_waitcnt lgkmcnt(0)
	s_bfe_u32 s20, s20, 0xa0006
	v_cmp_gt_u32_e32 vcc, s20, v0
	s_and_saveexec_b64 s[24:25], vcc
	s_cbranch_execnz .LBB4_21
; %bb.19:                               ;   in Loop: Header=BB4_7 Depth=1
	s_or_b64 exec, exec, s[24:25]
	s_and_saveexec_b64 s[24:25], s[10:11]
	s_cbranch_execnz .LBB4_22
.LBB4_20:                               ;   in Loop: Header=BB4_7 Depth=1
	s_or_b64 exec, exec, s[24:25]
	s_and_saveexec_b64 s[24:25], s[8:9]
	s_cbranch_execz .LBB4_5
	s_branch .LBB4_23
.LBB4_21:                               ;   in Loop: Header=BB4_7 Depth=1
	ds_read_b64 v[5:6], v13
	s_or_b64 exec, exec, s[24:25]
	s_and_saveexec_b64 s[24:25], s[10:11]
	s_cbranch_execz .LBB4_20
.LBB4_22:                               ;   in Loop: Header=BB4_7 Depth=1
	s_waitcnt lgkmcnt(0)
	ds_bpermute_b32 v7, v15, v5
	ds_bpermute_b32 v8, v15, v6
	s_waitcnt lgkmcnt(0)
	v_add_f64 v[5:6], v[5:6], v[7:8]
	ds_bpermute_b32 v7, v3, v5
	ds_bpermute_b32 v8, v3, v6
	s_waitcnt lgkmcnt(0)
	v_add_f64 v[5:6], v[5:6], v[7:8]
	ds_bpermute_b32 v7, v9, v5
	ds_bpermute_b32 v8, v9, v6
	s_waitcnt lgkmcnt(0)
	v_add_f64 v[5:6], v[5:6], v[7:8]
	ds_bpermute_b32 v7, v10, v5
	ds_bpermute_b32 v8, v10, v6
	s_waitcnt lgkmcnt(0)
	v_add_f64 v[5:6], v[5:6], v[7:8]
	ds_bpermute_b32 v7, v11, v5
	ds_bpermute_b32 v8, v11, v6
	s_waitcnt lgkmcnt(0)
	v_add_f64 v[5:6], v[5:6], v[7:8]
	ds_bpermute_b32 v7, v16, v5
	ds_bpermute_b32 v8, v16, v6
	s_waitcnt lgkmcnt(0)
	v_add_f64 v[5:6], v[5:6], v[7:8]
	s_or_b64 exec, exec, s[24:25]
	s_and_saveexec_b64 s[24:25], s[8:9]
	s_cbranch_execz .LBB4_5
.LBB4_23:                               ;   in Loop: Header=BB4_7 Depth=1
	s_lshl_b64 s[26:27], s[16:17], 3
	s_add_u32 s26, s7, s26
	s_addc_u32 s27, s33, s27
	global_load_dwordx2 v[7:8], v4, s[26:27]
	s_waitcnt vmcnt(0) lgkmcnt(0)
	v_add_f64 v[5:6], v[5:6], v[7:8]
	global_store_dwordx2 v4, v[5:6], s[26:27]
	s_branch .LBB4_5
.LBB4_24:
	s_and_saveexec_b64 s[2:3], s[0:1]
	s_cbranch_execz .LBB4_27
; %bb.25:
	s_ashr_i32 s2, s6, 31
	s_and_b64 s[0:1], s[12:13], exec
	s_cselect_b32 s1, 0, s2
	s_load_dword s2, s[4:5], 0x44
	s_cselect_b32 s0, 0, s6
	s_lshl_b64 s[0:1], s[0:1], 3
	s_add_u32 s0, s14, s0
	s_addc_u32 s1, s15, s1
	s_waitcnt lgkmcnt(0)
	s_and_b32 s4, s2, 0xffff
	s_mov_b64 s[2:3], 0
	v_mov_b32_e32 v2, 0
	v_mov_b32_e32 v3, s33
.LBB4_26:                               ; =>This Inner Loop Header: Depth=1
	v_ashrrev_i32_e32 v1, 31, v0
	v_lshlrev_b64 v[6:7], 3, v[0:1]
	global_load_dwordx2 v[4:5], v2, s[0:1]
	v_add_co_u32_e32 v6, vcc, s7, v6
	v_addc_co_u32_e32 v7, vcc, v3, v7, vcc
	global_load_dwordx2 v[8:9], v[6:7], off
	v_add_u32_e32 v0, s4, v0
	v_cmp_le_i32_e32 vcc, s21, v0
	s_or_b64 s[2:3], vcc, s[2:3]
	s_waitcnt vmcnt(0)
	v_mul_f64 v[4:5], v[4:5], v[8:9]
	global_store_dwordx2 v[6:7], v[4:5], off
	s_andn2_b64 exec, exec, s[2:3]
	s_cbranch_execnz .LBB4_26
.LBB4_27:
	s_endpgm
	.section	.rodata,"a",@progbits
	.p2align	6, 0x0
	.amdhsa_kernel _ZN2at6native12_GLOBAL__N_138multilabel_margin_loss_backward_kernelIddEEvPT_PKS3_S6_PKlS6_iibb
		.amdhsa_group_segment_fixed_size 1024
		.amdhsa_private_segment_fixed_size 0
		.amdhsa_kernarg_size 312
		.amdhsa_user_sgpr_count 6
		.amdhsa_user_sgpr_private_segment_buffer 1
		.amdhsa_user_sgpr_dispatch_ptr 0
		.amdhsa_user_sgpr_queue_ptr 0
		.amdhsa_user_sgpr_kernarg_segment_ptr 1
		.amdhsa_user_sgpr_dispatch_id 0
		.amdhsa_user_sgpr_flat_scratch_init 0
		.amdhsa_user_sgpr_private_segment_size 0
		.amdhsa_uses_dynamic_stack 0
		.amdhsa_system_sgpr_private_segment_wavefront_offset 0
		.amdhsa_system_sgpr_workgroup_id_x 1
		.amdhsa_system_sgpr_workgroup_id_y 0
		.amdhsa_system_sgpr_workgroup_id_z 0
		.amdhsa_system_sgpr_workgroup_info 0
		.amdhsa_system_vgpr_workitem_id 0
		.amdhsa_next_free_vgpr 18
		.amdhsa_next_free_sgpr 40
		.amdhsa_reserve_vcc 1
		.amdhsa_reserve_flat_scratch 0
		.amdhsa_float_round_mode_32 0
		.amdhsa_float_round_mode_16_64 0
		.amdhsa_float_denorm_mode_32 3
		.amdhsa_float_denorm_mode_16_64 3
		.amdhsa_dx10_clamp 1
		.amdhsa_ieee_mode 1
		.amdhsa_fp16_overflow 0
		.amdhsa_exception_fp_ieee_invalid_op 0
		.amdhsa_exception_fp_denorm_src 0
		.amdhsa_exception_fp_ieee_div_zero 0
		.amdhsa_exception_fp_ieee_overflow 0
		.amdhsa_exception_fp_ieee_underflow 0
		.amdhsa_exception_fp_ieee_inexact 0
		.amdhsa_exception_int_div_zero 0
	.end_amdhsa_kernel
	.section	.text._ZN2at6native12_GLOBAL__N_138multilabel_margin_loss_backward_kernelIddEEvPT_PKS3_S6_PKlS6_iibb,"axG",@progbits,_ZN2at6native12_GLOBAL__N_138multilabel_margin_loss_backward_kernelIddEEvPT_PKS3_S6_PKlS6_iibb,comdat
.Lfunc_end4:
	.size	_ZN2at6native12_GLOBAL__N_138multilabel_margin_loss_backward_kernelIddEEvPT_PKS3_S6_PKlS6_iibb, .Lfunc_end4-_ZN2at6native12_GLOBAL__N_138multilabel_margin_loss_backward_kernelIddEEvPT_PKS3_S6_PKlS6_iibb
                                        ; -- End function
	.set _ZN2at6native12_GLOBAL__N_138multilabel_margin_loss_backward_kernelIddEEvPT_PKS3_S6_PKlS6_iibb.num_vgpr, 18
	.set _ZN2at6native12_GLOBAL__N_138multilabel_margin_loss_backward_kernelIddEEvPT_PKS3_S6_PKlS6_iibb.num_agpr, 0
	.set _ZN2at6native12_GLOBAL__N_138multilabel_margin_loss_backward_kernelIddEEvPT_PKS3_S6_PKlS6_iibb.numbered_sgpr, 40
	.set _ZN2at6native12_GLOBAL__N_138multilabel_margin_loss_backward_kernelIddEEvPT_PKS3_S6_PKlS6_iibb.num_named_barrier, 0
	.set _ZN2at6native12_GLOBAL__N_138multilabel_margin_loss_backward_kernelIddEEvPT_PKS3_S6_PKlS6_iibb.private_seg_size, 0
	.set _ZN2at6native12_GLOBAL__N_138multilabel_margin_loss_backward_kernelIddEEvPT_PKS3_S6_PKlS6_iibb.uses_vcc, 1
	.set _ZN2at6native12_GLOBAL__N_138multilabel_margin_loss_backward_kernelIddEEvPT_PKS3_S6_PKlS6_iibb.uses_flat_scratch, 0
	.set _ZN2at6native12_GLOBAL__N_138multilabel_margin_loss_backward_kernelIddEEvPT_PKS3_S6_PKlS6_iibb.has_dyn_sized_stack, 0
	.set _ZN2at6native12_GLOBAL__N_138multilabel_margin_loss_backward_kernelIddEEvPT_PKS3_S6_PKlS6_iibb.has_recursion, 0
	.set _ZN2at6native12_GLOBAL__N_138multilabel_margin_loss_backward_kernelIddEEvPT_PKS3_S6_PKlS6_iibb.has_indirect_call, 0
	.section	.AMDGPU.csdata,"",@progbits
; Kernel info:
; codeLenInByte = 1540
; TotalNumSgprs: 44
; NumVgprs: 18
; ScratchSize: 0
; MemoryBound: 0
; FloatMode: 240
; IeeeMode: 1
; LDSByteSize: 1024 bytes/workgroup (compile time only)
; SGPRBlocks: 5
; VGPRBlocks: 4
; NumSGPRsForWavesPerEU: 44
; NumVGPRsForWavesPerEU: 18
; Occupancy: 10
; WaveLimiterHint : 1
; COMPUTE_PGM_RSRC2:SCRATCH_EN: 0
; COMPUTE_PGM_RSRC2:USER_SGPR: 6
; COMPUTE_PGM_RSRC2:TRAP_HANDLER: 0
; COMPUTE_PGM_RSRC2:TGID_X_EN: 1
; COMPUTE_PGM_RSRC2:TGID_Y_EN: 0
; COMPUTE_PGM_RSRC2:TGID_Z_EN: 0
; COMPUTE_PGM_RSRC2:TIDIG_COMP_CNT: 0
	.section	.text._ZN2at6native12_GLOBAL__N_138multilabel_margin_loss_backward_kernelIffEEvPT_PKS3_S6_PKlS6_iibb,"axG",@progbits,_ZN2at6native12_GLOBAL__N_138multilabel_margin_loss_backward_kernelIffEEvPT_PKS3_S6_PKlS6_iibb,comdat
	.globl	_ZN2at6native12_GLOBAL__N_138multilabel_margin_loss_backward_kernelIffEEvPT_PKS3_S6_PKlS6_iibb ; -- Begin function _ZN2at6native12_GLOBAL__N_138multilabel_margin_loss_backward_kernelIffEEvPT_PKS3_S6_PKlS6_iibb
	.p2align	8
	.type	_ZN2at6native12_GLOBAL__N_138multilabel_margin_loss_backward_kernelIffEEvPT_PKS3_S6_PKlS6_iibb,@function
_ZN2at6native12_GLOBAL__N_138multilabel_margin_loss_backward_kernelIffEEvPT_PKS3_S6_PKlS6_iibb: ; @_ZN2at6native12_GLOBAL__N_138multilabel_margin_loss_backward_kernelIffEEvPT_PKS3_S6_PKlS6_iibb
; %bb.0:
	s_load_dwordx4 s[20:23], s[4:5], 0x28
	s_load_dwordx8 s[12:19], s[4:5], 0x0
	s_load_dwordx2 s[2:3], s[4:5], 0x20
	s_waitcnt lgkmcnt(0)
	s_mul_i32 s8, s21, s6
	s_ashr_i32 s9, s8, 31
	s_lshl_b64 s[10:11], s[8:9], 2
	s_add_u32 s7, s12, s10
	s_addc_u32 s33, s13, s11
	v_cmp_gt_i32_e64 s[0:1], s21, v0
	s_and_saveexec_b64 s[12:13], s[0:1]
	s_cbranch_execz .LBB5_3
; %bb.1:
	s_load_dword s23, s[4:5], 0x44
	s_mov_b64 s[24:25], 0
	v_mov_b32_e32 v3, s33
	v_mov_b32_e32 v4, 0
	;; [unrolled: 1-line block ×3, first 2 shown]
	s_waitcnt lgkmcnt(0)
	s_and_b32 s23, s23, 0xffff
.LBB5_2:                                ; =>This Inner Loop Header: Depth=1
	v_ashrrev_i32_e32 v2, 31, v1
	v_lshlrev_b64 v[5:6], 2, v[1:2]
	v_add_u32_e32 v1, s23, v1
	v_add_co_u32_e32 v5, vcc, s7, v5
	v_addc_co_u32_e32 v6, vcc, v3, v6, vcc
	v_cmp_le_i32_e32 vcc, s21, v1
	s_or_b64 s[24:25], vcc, s[24:25]
	global_store_dword v[5:6], v4, off
	s_andn2_b64 exec, exec, s[24:25]
	s_cbranch_execnz .LBB5_2
.LBB5_3:
	s_or_b64 exec, exec, s[12:13]
	s_load_dword s12, s[4:5], 0x30
	s_waitcnt vmcnt(0) lgkmcnt(0)
	s_barrier
	s_bitcmp1_b32 s12, 8
	s_cselect_b64 s[12:13], -1, 0
	s_cmp_lt_i32 s21, 1
	s_cbranch_scc1 .LBB5_24
; %bb.4:
	s_bitcmp1_b32 s22, 0
	s_cselect_b64 s[22:23], -1, 0
	s_add_u32 s34, s16, s10
	s_addc_u32 s35, s17, s11
	s_lshl_b64 s[8:9], s[8:9], 3
	s_add_u32 s36, s18, s8
	s_addc_u32 s37, s19, s9
	s_add_u32 s38, s2, s10
	s_addc_u32 s39, s3, s11
	s_and_b64 s[2:3], s[22:23], s[12:13]
	s_and_b64 s[2:3], s[2:3], exec
	s_cselect_b32 s2, s20, 1
	s_mul_i32 s2, s2, s21
	v_cvt_f32_i32_e32 v1, s2
	s_mov_b32 s17, 0
	v_mov_b32_e32 v9, 0x80
	s_add_u32 s18, s4, 56
	v_div_scale_f32 v2, s[2:3], v1, v1, 1.0
	v_div_scale_f32 v3, vcc, 1.0, v1, 1.0
	v_cmp_gt_u32_e64 s[2:3], 64, v0
	v_cmp_eq_u32_e64 s[10:11], 0, v0
	s_addc_u32 s19, s5, 0
	s_mov_b32 s22, s17
	v_rcp_f32_e32 v4, v2
	v_fma_f32 v5, -v2, v4, 1.0
	v_fmac_f32_e32 v4, v5, v4
	v_mul_f32_e32 v5, v3, v4
	v_fma_f32 v6, -v2, v5, v3
	v_fmac_f32_e32 v5, v6, v4
	v_fma_f32 v2, -v2, v5, v3
	v_div_fmas_f32 v3, v2, v4, v5
	v_mbcnt_lo_u32_b32 v5, -1, 0
	v_and_b32_e32 v4, 63, v0
	v_mbcnt_hi_u32_b32 v8, -1, v5
	v_lshrrev_b32_e32 v6, 4, v0
	v_mov_b32_e32 v2, 0
	v_cmp_eq_u32_e64 s[8:9], 0, v4
	v_lshlrev_b32_e32 v7, 2, v4
	v_lshl_or_b32 v9, v8, 2, v9
	v_div_fixup_f32 v10, v3, v1, 1.0
	s_branch .LBB5_7
.LBB5_5:                                ;   in Loop: Header=BB5_7 Depth=1
	s_or_b64 exec, exec, s[24:25]
	s_add_i32 s22, s22, 1
	s_cmp_eq_u32 s22, s21
	s_cselect_b64 s[24:25], -1, 0
.LBB5_6:                                ;   in Loop: Header=BB5_7 Depth=1
	s_and_b64 vcc, exec, s[24:25]
	s_cbranch_vccnz .LBB5_24
.LBB5_7:                                ; =>This Loop Header: Depth=1
                                        ;     Child Loop BB5_12 Depth 2
	s_mov_b32 s23, s17
	s_lshl_b64 s[24:25], s[22:23], 3
	s_add_u32 s24, s36, s24
	s_addc_u32 s25, s37, s25
	global_load_dwordx2 v[3:4], v2, s[24:25]
	s_mov_b64 s[24:25], -1
	s_waitcnt vmcnt(0)
	v_and_b32_e32 v1, 0x80000000, v3
	v_cmp_ne_u64_e32 vcc, 0, v[1:2]
	v_readfirstlane_b32 s16, v3
	s_cbranch_vccnz .LBB5_6
; %bb.8:                                ;   in Loop: Header=BB5_7 Depth=1
	s_bitset0_b32 s16, 31
	v_mov_b32_e32 v1, 0
	s_and_saveexec_b64 s[24:25], s[0:1]
	s_cbranch_execz .LBB5_16
; %bb.9:                                ;   in Loop: Header=BB5_7 Depth=1
	s_lshl_b64 s[26:27], s[16:17], 2
	s_add_u32 s26, s34, s26
	s_addc_u32 s27, s35, s27
	global_load_dword v3, v2, s[26:27]
	s_load_dword s20, s[18:19], 0xc
	v_mov_b32_e32 v1, 0
	s_mov_b64 s[26:27], 0
	s_waitcnt lgkmcnt(0)
	s_and_b32 s20, s20, 0xffff
	s_waitcnt vmcnt(0)
	v_sub_f32_e32 v11, 1.0, v3
	v_mov_b32_e32 v3, v0
	s_branch .LBB5_12
.LBB5_10:                               ;   in Loop: Header=BB5_12 Depth=2
	s_or_b64 exec, exec, s[30:31]
.LBB5_11:                               ;   in Loop: Header=BB5_12 Depth=2
	s_or_b64 exec, exec, s[28:29]
	v_add_u32_e32 v3, s20, v3
	v_cmp_le_i32_e32 vcc, s21, v3
	s_or_b64 s[26:27], vcc, s[26:27]
	s_andn2_b64 exec, exec, s[26:27]
	s_cbranch_execz .LBB5_15
.LBB5_12:                               ;   Parent Loop BB5_7 Depth=1
                                        ; =>  This Inner Loop Header: Depth=2
	v_ashrrev_i32_e32 v4, 31, v3
	v_lshlrev_b64 v[4:5], 2, v[3:4]
	v_mov_b32_e32 v13, s39
	v_add_co_u32_e32 v12, vcc, s38, v4
	v_addc_co_u32_e32 v13, vcc, v13, v5, vcc
	global_load_dword v12, v[12:13], off
	s_waitcnt vmcnt(0)
	v_cvt_i32_f32_e32 v12, v12
	v_cmp_eq_u32_e32 vcc, 0, v12
	s_and_saveexec_b64 s[28:29], vcc
	s_cbranch_execz .LBB5_11
; %bb.13:                               ;   in Loop: Header=BB5_12 Depth=2
	v_mov_b32_e32 v13, s35
	v_add_co_u32_e32 v12, vcc, s34, v4
	v_addc_co_u32_e32 v13, vcc, v13, v5, vcc
	global_load_dword v12, v[12:13], off
	s_waitcnt vmcnt(0)
	v_add_f32_e32 v12, v11, v12
	v_cmp_lt_f32_e32 vcc, 0, v12
	s_and_saveexec_b64 s[30:31], vcc
	s_cbranch_execz .LBB5_10
; %bb.14:                               ;   in Loop: Header=BB5_12 Depth=2
	v_mov_b32_e32 v12, s33
	v_add_co_u32_e32 v4, vcc, s7, v4
	v_addc_co_u32_e32 v5, vcc, v12, v5, vcc
	global_load_dword v12, v[4:5], off
	v_sub_f32_e32 v1, v1, v10
	s_waitcnt vmcnt(0)
	v_add_f32_e32 v12, v10, v12
	global_store_dword v[4:5], v12, off
	s_branch .LBB5_10
.LBB5_15:                               ;   in Loop: Header=BB5_7 Depth=1
	s_or_b64 exec, exec, s[26:27]
.LBB5_16:                               ;   in Loop: Header=BB5_7 Depth=1
	s_or_b64 exec, exec, s[24:25]
	ds_bpermute_b32 v4, v9, v1
	v_and_b32_e32 v11, 63, v8
	v_cmp_gt_u32_e32 vcc, 48, v11
	v_cndmask_b32_e64 v3, 0, 16, vcc
	v_add_lshl_u32 v3, v3, v8, 2
	s_waitcnt lgkmcnt(0)
	v_add_f32_e32 v4, v1, v4
	ds_bpermute_b32 v5, v3, v4
	v_cmp_gt_u32_e32 vcc, 56, v11
	v_cndmask_b32_e64 v1, 0, 8, vcc
	v_add_lshl_u32 v1, v1, v8, 2
	v_cmp_gt_u32_e32 vcc, 60, v11
	s_waitcnt lgkmcnt(0)
	v_add_f32_e32 v5, v4, v5
	ds_bpermute_b32 v12, v1, v5
	v_cndmask_b32_e64 v4, 0, 4, vcc
	v_add_lshl_u32 v4, v4, v8, 2
	v_cmp_gt_u32_e32 vcc, 62, v11
	s_waitcnt lgkmcnt(0)
	v_add_f32_e32 v12, v5, v12
	ds_bpermute_b32 v13, v4, v12
	v_cndmask_b32_e64 v5, 0, 2, vcc
	v_add_lshl_u32 v5, v5, v8, 2
	v_cmp_ne_u32_e32 vcc, 63, v11
	v_addc_co_u32_e32 v11, vcc, 0, v8, vcc
	s_waitcnt lgkmcnt(0)
	v_add_f32_e32 v12, v12, v13
	ds_bpermute_b32 v13, v5, v12
	v_lshlrev_b32_e32 v11, 2, v11
	s_waitcnt vmcnt(0) lgkmcnt(0)
	s_barrier
	v_add_f32_e32 v12, v12, v13
	ds_bpermute_b32 v13, v11, v12
	s_waitcnt lgkmcnt(0)
	s_barrier
	s_and_saveexec_b64 s[24:25], s[8:9]
; %bb.17:                               ;   in Loop: Header=BB5_7 Depth=1
	v_add_f32_e32 v12, v12, v13
	ds_write_b32 v6, v12
; %bb.18:                               ;   in Loop: Header=BB5_7 Depth=1
	s_or_b64 exec, exec, s[24:25]
	s_waitcnt lgkmcnt(0)
	s_barrier
	s_load_dword s20, s[18:19], 0xc
	v_mov_b32_e32 v12, 0
	s_waitcnt lgkmcnt(0)
	s_bfe_u32 s20, s20, 0xa0006
	v_cmp_gt_u32_e32 vcc, s20, v0
	s_and_saveexec_b64 s[24:25], vcc
	s_cbranch_execnz .LBB5_21
; %bb.19:                               ;   in Loop: Header=BB5_7 Depth=1
	s_or_b64 exec, exec, s[24:25]
	s_and_saveexec_b64 s[24:25], s[2:3]
	s_cbranch_execnz .LBB5_22
.LBB5_20:                               ;   in Loop: Header=BB5_7 Depth=1
	s_or_b64 exec, exec, s[24:25]
	s_and_saveexec_b64 s[24:25], s[10:11]
	s_cbranch_execz .LBB5_5
	s_branch .LBB5_23
.LBB5_21:                               ;   in Loop: Header=BB5_7 Depth=1
	ds_read_b32 v12, v7
	s_or_b64 exec, exec, s[24:25]
	s_and_saveexec_b64 s[24:25], s[2:3]
	s_cbranch_execz .LBB5_20
.LBB5_22:                               ;   in Loop: Header=BB5_7 Depth=1
	s_waitcnt lgkmcnt(0)
	ds_bpermute_b32 v13, v9, v12
	s_waitcnt lgkmcnt(0)
	v_add_f32_e32 v12, v12, v13
	ds_bpermute_b32 v3, v3, v12
	s_waitcnt lgkmcnt(0)
	v_add_f32_e32 v3, v12, v3
	;; [unrolled: 3-line block ×6, first 2 shown]
	s_or_b64 exec, exec, s[24:25]
	s_and_saveexec_b64 s[24:25], s[10:11]
	s_cbranch_execz .LBB5_5
.LBB5_23:                               ;   in Loop: Header=BB5_7 Depth=1
	s_lshl_b64 s[26:27], s[16:17], 2
	s_add_u32 s26, s7, s26
	s_addc_u32 s27, s33, s27
	global_load_dword v1, v2, s[26:27]
	s_waitcnt vmcnt(0) lgkmcnt(0)
	v_add_f32_e32 v1, v12, v1
	global_store_dword v2, v1, s[26:27]
	s_branch .LBB5_5
.LBB5_24:
	s_and_saveexec_b64 s[2:3], s[0:1]
	s_cbranch_execz .LBB5_27
; %bb.25:
	s_ashr_i32 s2, s6, 31
	s_and_b64 s[0:1], s[12:13], exec
	s_cselect_b32 s1, 0, s2
	s_load_dword s2, s[4:5], 0x44
	s_cselect_b32 s0, 0, s6
	s_lshl_b64 s[0:1], s[0:1], 2
	s_add_u32 s0, s14, s0
	s_addc_u32 s1, s15, s1
	s_waitcnt lgkmcnt(0)
	s_and_b32 s4, s2, 0xffff
	s_mov_b64 s[2:3], 0
	v_mov_b32_e32 v2, 0
	v_mov_b32_e32 v3, s33
.LBB5_26:                               ; =>This Inner Loop Header: Depth=1
	v_ashrrev_i32_e32 v1, 31, v0
	v_lshlrev_b64 v[4:5], 2, v[0:1]
	global_load_dword v6, v2, s[0:1]
	v_add_co_u32_e32 v4, vcc, s7, v4
	v_addc_co_u32_e32 v5, vcc, v3, v5, vcc
	global_load_dword v1, v[4:5], off
	v_add_u32_e32 v0, s4, v0
	v_cmp_le_i32_e32 vcc, s21, v0
	s_or_b64 s[2:3], vcc, s[2:3]
	s_waitcnt vmcnt(0)
	v_mul_f32_e32 v1, v6, v1
	global_store_dword v[4:5], v1, off
	s_andn2_b64 exec, exec, s[2:3]
	s_cbranch_execnz .LBB5_26
.LBB5_27:
	s_endpgm
	.section	.rodata,"a",@progbits
	.p2align	6, 0x0
	.amdhsa_kernel _ZN2at6native12_GLOBAL__N_138multilabel_margin_loss_backward_kernelIffEEvPT_PKS3_S6_PKlS6_iibb
		.amdhsa_group_segment_fixed_size 512
		.amdhsa_private_segment_fixed_size 0
		.amdhsa_kernarg_size 312
		.amdhsa_user_sgpr_count 6
		.amdhsa_user_sgpr_private_segment_buffer 1
		.amdhsa_user_sgpr_dispatch_ptr 0
		.amdhsa_user_sgpr_queue_ptr 0
		.amdhsa_user_sgpr_kernarg_segment_ptr 1
		.amdhsa_user_sgpr_dispatch_id 0
		.amdhsa_user_sgpr_flat_scratch_init 0
		.amdhsa_user_sgpr_private_segment_size 0
		.amdhsa_uses_dynamic_stack 0
		.amdhsa_system_sgpr_private_segment_wavefront_offset 0
		.amdhsa_system_sgpr_workgroup_id_x 1
		.amdhsa_system_sgpr_workgroup_id_y 0
		.amdhsa_system_sgpr_workgroup_id_z 0
		.amdhsa_system_sgpr_workgroup_info 0
		.amdhsa_system_vgpr_workitem_id 0
		.amdhsa_next_free_vgpr 14
		.amdhsa_next_free_sgpr 40
		.amdhsa_reserve_vcc 1
		.amdhsa_reserve_flat_scratch 0
		.amdhsa_float_round_mode_32 0
		.amdhsa_float_round_mode_16_64 0
		.amdhsa_float_denorm_mode_32 3
		.amdhsa_float_denorm_mode_16_64 3
		.amdhsa_dx10_clamp 1
		.amdhsa_ieee_mode 1
		.amdhsa_fp16_overflow 0
		.amdhsa_exception_fp_ieee_invalid_op 0
		.amdhsa_exception_fp_denorm_src 0
		.amdhsa_exception_fp_ieee_div_zero 0
		.amdhsa_exception_fp_ieee_overflow 0
		.amdhsa_exception_fp_ieee_underflow 0
		.amdhsa_exception_fp_ieee_inexact 0
		.amdhsa_exception_int_div_zero 0
	.end_amdhsa_kernel
	.section	.text._ZN2at6native12_GLOBAL__N_138multilabel_margin_loss_backward_kernelIffEEvPT_PKS3_S6_PKlS6_iibb,"axG",@progbits,_ZN2at6native12_GLOBAL__N_138multilabel_margin_loss_backward_kernelIffEEvPT_PKS3_S6_PKlS6_iibb,comdat
.Lfunc_end5:
	.size	_ZN2at6native12_GLOBAL__N_138multilabel_margin_loss_backward_kernelIffEEvPT_PKS3_S6_PKlS6_iibb, .Lfunc_end5-_ZN2at6native12_GLOBAL__N_138multilabel_margin_loss_backward_kernelIffEEvPT_PKS3_S6_PKlS6_iibb
                                        ; -- End function
	.set _ZN2at6native12_GLOBAL__N_138multilabel_margin_loss_backward_kernelIffEEvPT_PKS3_S6_PKlS6_iibb.num_vgpr, 14
	.set _ZN2at6native12_GLOBAL__N_138multilabel_margin_loss_backward_kernelIffEEvPT_PKS3_S6_PKlS6_iibb.num_agpr, 0
	.set _ZN2at6native12_GLOBAL__N_138multilabel_margin_loss_backward_kernelIffEEvPT_PKS3_S6_PKlS6_iibb.numbered_sgpr, 40
	.set _ZN2at6native12_GLOBAL__N_138multilabel_margin_loss_backward_kernelIffEEvPT_PKS3_S6_PKlS6_iibb.num_named_barrier, 0
	.set _ZN2at6native12_GLOBAL__N_138multilabel_margin_loss_backward_kernelIffEEvPT_PKS3_S6_PKlS6_iibb.private_seg_size, 0
	.set _ZN2at6native12_GLOBAL__N_138multilabel_margin_loss_backward_kernelIffEEvPT_PKS3_S6_PKlS6_iibb.uses_vcc, 1
	.set _ZN2at6native12_GLOBAL__N_138multilabel_margin_loss_backward_kernelIffEEvPT_PKS3_S6_PKlS6_iibb.uses_flat_scratch, 0
	.set _ZN2at6native12_GLOBAL__N_138multilabel_margin_loss_backward_kernelIffEEvPT_PKS3_S6_PKlS6_iibb.has_dyn_sized_stack, 0
	.set _ZN2at6native12_GLOBAL__N_138multilabel_margin_loss_backward_kernelIffEEvPT_PKS3_S6_PKlS6_iibb.has_recursion, 0
	.set _ZN2at6native12_GLOBAL__N_138multilabel_margin_loss_backward_kernelIffEEvPT_PKS3_S6_PKlS6_iibb.has_indirect_call, 0
	.section	.AMDGPU.csdata,"",@progbits
; Kernel info:
; codeLenInByte = 1336
; TotalNumSgprs: 44
; NumVgprs: 14
; ScratchSize: 0
; MemoryBound: 0
; FloatMode: 240
; IeeeMode: 1
; LDSByteSize: 512 bytes/workgroup (compile time only)
; SGPRBlocks: 5
; VGPRBlocks: 3
; NumSGPRsForWavesPerEU: 44
; NumVGPRsForWavesPerEU: 14
; Occupancy: 10
; WaveLimiterHint : 1
; COMPUTE_PGM_RSRC2:SCRATCH_EN: 0
; COMPUTE_PGM_RSRC2:USER_SGPR: 6
; COMPUTE_PGM_RSRC2:TRAP_HANDLER: 0
; COMPUTE_PGM_RSRC2:TGID_X_EN: 1
; COMPUTE_PGM_RSRC2:TGID_Y_EN: 0
; COMPUTE_PGM_RSRC2:TGID_Z_EN: 0
; COMPUTE_PGM_RSRC2:TIDIG_COMP_CNT: 0
	.section	.text._ZN2at6native12_GLOBAL__N_138multilabel_margin_loss_backward_kernelIN3c104HalfEfEEvPT_PKS5_S8_PKlS8_iibb,"axG",@progbits,_ZN2at6native12_GLOBAL__N_138multilabel_margin_loss_backward_kernelIN3c104HalfEfEEvPT_PKS5_S8_PKlS8_iibb,comdat
	.globl	_ZN2at6native12_GLOBAL__N_138multilabel_margin_loss_backward_kernelIN3c104HalfEfEEvPT_PKS5_S8_PKlS8_iibb ; -- Begin function _ZN2at6native12_GLOBAL__N_138multilabel_margin_loss_backward_kernelIN3c104HalfEfEEvPT_PKS5_S8_PKlS8_iibb
	.p2align	8
	.type	_ZN2at6native12_GLOBAL__N_138multilabel_margin_loss_backward_kernelIN3c104HalfEfEEvPT_PKS5_S8_PKlS8_iibb,@function
_ZN2at6native12_GLOBAL__N_138multilabel_margin_loss_backward_kernelIN3c104HalfEfEEvPT_PKS5_S8_PKlS8_iibb: ; @_ZN2at6native12_GLOBAL__N_138multilabel_margin_loss_backward_kernelIN3c104HalfEfEEvPT_PKS5_S8_PKlS8_iibb
; %bb.0:
	s_load_dwordx4 s[20:23], s[4:5], 0x28
	s_load_dwordx8 s[12:19], s[4:5], 0x0
	s_load_dwordx2 s[2:3], s[4:5], 0x20
	s_waitcnt lgkmcnt(0)
	s_mul_i32 s8, s21, s6
	s_ashr_i32 s9, s8, 31
	s_lshl_b64 s[10:11], s[8:9], 1
	s_add_u32 s12, s12, s10
	s_addc_u32 s13, s13, s11
	v_cmp_gt_i32_e64 s[0:1], s21, v0
	s_and_saveexec_b64 s[24:25], s[0:1]
	s_cbranch_execz .LBB6_3
; %bb.1:
	s_load_dword s7, s[4:5], 0x44
	s_mov_b64 s[26:27], 0
	v_mov_b32_e32 v3, s13
	v_mov_b32_e32 v4, 0
	;; [unrolled: 1-line block ×3, first 2 shown]
	s_waitcnt lgkmcnt(0)
	s_and_b32 s7, s7, 0xffff
.LBB6_2:                                ; =>This Inner Loop Header: Depth=1
	v_ashrrev_i32_e32 v2, 31, v1
	v_lshlrev_b64 v[5:6], 1, v[1:2]
	v_add_u32_e32 v1, s7, v1
	v_add_co_u32_e32 v5, vcc, s12, v5
	v_addc_co_u32_e32 v6, vcc, v3, v6, vcc
	v_cmp_le_i32_e32 vcc, s21, v1
	s_or_b64 s[26:27], vcc, s[26:27]
	global_store_short v[5:6], v4, off
	s_andn2_b64 exec, exec, s[26:27]
	s_cbranch_execnz .LBB6_2
.LBB6_3:
	s_or_b64 exec, exec, s[24:25]
	s_load_dword s7, s[4:5], 0x30
	s_waitcnt vmcnt(0) lgkmcnt(0)
	s_barrier
	s_bitcmp1_b32 s7, 8
	s_cselect_b64 s[24:25], -1, 0
	s_cmp_lt_i32 s21, 1
	s_cbranch_scc1 .LBB6_24
; %bb.4:
	s_bitcmp1_b32 s22, 0
	s_cselect_b64 s[22:23], -1, 0
	s_add_u32 s16, s16, s10
	s_addc_u32 s17, s17, s11
	s_lshl_b64 s[8:9], s[8:9], 3
	s_add_u32 s7, s18, s8
	s_addc_u32 s33, s19, s9
	s_add_u32 s36, s2, s10
	s_addc_u32 s37, s3, s11
	s_and_b64 s[2:3], s[22:23], s[24:25]
	s_and_b64 s[2:3], s[2:3], exec
	s_cselect_b32 s2, s20, 1
	s_mul_i32 s2, s2, s21
	v_cvt_f32_i32_e32 v1, s2
	s_mov_b32 s19, 0
	s_add_u32 s22, s4, 56
	v_cmp_eq_u32_e64 s[10:11], 0, v0
	v_div_scale_f32 v2, s[2:3], v1, v1, 1.0
	v_div_scale_f32 v3, vcc, 1.0, v1, 1.0
	v_cmp_gt_u32_e64 s[2:3], 64, v0
	s_addc_u32 s23, s5, 0
	s_mov_b32 s18, s19
	v_rcp_f32_e32 v4, v2
	v_fma_f32 v5, -v2, v4, 1.0
	v_fmac_f32_e32 v4, v5, v4
	v_mul_f32_e32 v5, v3, v4
	v_fma_f32 v6, -v2, v5, v3
	v_fmac_f32_e32 v5, v6, v4
	v_fma_f32 v2, -v2, v5, v3
	v_div_fmas_f32 v3, v2, v4, v5
	v_mbcnt_lo_u32_b32 v5, -1, 0
	v_and_b32_e32 v4, 63, v0
	v_mbcnt_hi_u32_b32 v10, -1, v5
	v_lshrrev_b32_e32 v6, 4, v0
	v_mov_b32_e32 v2, 0
	v_cmp_eq_u32_e64 s[8:9], 0, v4
	v_lshlrev_b32_e32 v8, 2, v4
	v_div_fixup_f32 v1, v3, v1, 1.0
	v_cvt_f16_f32_e32 v7, v1
	v_mov_b32_e32 v1, 0x80
	v_lshl_or_b32 v11, v10, 2, v1
	v_cvt_f32_f16_e32 v9, v7
	s_branch .LBB6_7
.LBB6_5:                                ;   in Loop: Header=BB6_7 Depth=1
	s_or_b64 exec, exec, s[26:27]
	s_add_i32 s18, s18, 1
	s_cmp_eq_u32 s18, s21
	s_cselect_b64 s[26:27], -1, 0
.LBB6_6:                                ;   in Loop: Header=BB6_7 Depth=1
	s_and_b64 vcc, exec, s[26:27]
	s_cbranch_vccnz .LBB6_24
.LBB6_7:                                ; =>This Loop Header: Depth=1
                                        ;     Child Loop BB6_12 Depth 2
	s_lshl_b64 s[26:27], s[18:19], 3
	s_add_u32 s26, s7, s26
	s_addc_u32 s27, s33, s27
	global_load_dwordx2 v[3:4], v2, s[26:27]
	s_mov_b64 s[26:27], -1
	s_waitcnt vmcnt(0)
	v_and_b32_e32 v1, 0x80000000, v3
	v_cmp_ne_u64_e32 vcc, 0, v[1:2]
	s_cbranch_vccnz .LBB6_6
; %bb.8:                                ;   in Loop: Header=BB6_7 Depth=1
	v_and_b32_e32 v1, 0x7fffffff, v3
	v_mov_b32_e32 v12, 0
	v_lshlrev_b32_e32 v1, 1, v1
	s_and_saveexec_b64 s[26:27], s[0:1]
	s_cbranch_execz .LBB6_16
; %bb.9:                                ;   in Loop: Header=BB6_7 Depth=1
	global_load_ushort v3, v1, s[16:17]
	s_load_dword s20, s[22:23], 0xc
	v_mov_b32_e32 v12, 0
	s_mov_b64 s[28:29], 0
	s_waitcnt lgkmcnt(0)
	s_and_b32 s20, s20, 0xffff
	s_waitcnt vmcnt(0)
	v_sub_f16_e32 v13, 1.0, v3
	v_mov_b32_e32 v3, v0
	s_branch .LBB6_12
.LBB6_10:                               ;   in Loop: Header=BB6_12 Depth=2
	s_or_b64 exec, exec, s[34:35]
.LBB6_11:                               ;   in Loop: Header=BB6_12 Depth=2
	s_or_b64 exec, exec, s[30:31]
	v_add_u32_e32 v3, s20, v3
	v_cmp_le_i32_e32 vcc, s21, v3
	s_or_b64 s[28:29], vcc, s[28:29]
	s_andn2_b64 exec, exec, s[28:29]
	s_cbranch_execz .LBB6_15
.LBB6_12:                               ;   Parent Loop BB6_7 Depth=1
                                        ; =>  This Inner Loop Header: Depth=2
	v_ashrrev_i32_e32 v4, 31, v3
	v_lshlrev_b64 v[4:5], 1, v[3:4]
	v_mov_b32_e32 v15, s37
	v_add_co_u32_e32 v14, vcc, s36, v4
	v_addc_co_u32_e32 v15, vcc, v15, v5, vcc
	global_load_ushort v14, v[14:15], off
	s_waitcnt vmcnt(0)
	v_cvt_f32_f16_e32 v14, v14
	v_cvt_i32_f32_e32 v14, v14
	v_cmp_eq_u32_e32 vcc, 0, v14
	s_and_saveexec_b64 s[30:31], vcc
	s_cbranch_execz .LBB6_11
; %bb.13:                               ;   in Loop: Header=BB6_12 Depth=2
	v_mov_b32_e32 v15, s17
	v_add_co_u32_e32 v14, vcc, s16, v4
	v_addc_co_u32_e32 v15, vcc, v15, v5, vcc
	global_load_ushort v14, v[14:15], off
	s_waitcnt vmcnt(0)
	v_add_f16_e32 v14, v13, v14
	v_cmp_lt_f16_e32 vcc, 0, v14
	s_and_saveexec_b64 s[34:35], vcc
	s_cbranch_execz .LBB6_10
; %bb.14:                               ;   in Loop: Header=BB6_12 Depth=2
	v_mov_b32_e32 v14, s13
	v_add_co_u32_e32 v4, vcc, s12, v4
	v_addc_co_u32_e32 v5, vcc, v14, v5, vcc
	global_load_ushort v14, v[4:5], off
	v_sub_f32_e32 v12, v12, v9
	s_waitcnt vmcnt(0)
	v_add_f16_e32 v14, v14, v7
	global_store_short v[4:5], v14, off
	s_branch .LBB6_10
.LBB6_15:                               ;   in Loop: Header=BB6_7 Depth=1
	s_or_b64 exec, exec, s[28:29]
.LBB6_16:                               ;   in Loop: Header=BB6_7 Depth=1
	s_or_b64 exec, exec, s[26:27]
	ds_bpermute_b32 v4, v11, v12
	v_and_b32_e32 v13, 63, v10
	v_cmp_gt_u32_e32 vcc, 48, v13
	v_cndmask_b32_e64 v3, 0, 16, vcc
	v_add_lshl_u32 v3, v3, v10, 2
	s_waitcnt lgkmcnt(0)
	v_add_f32_e32 v5, v12, v4
	ds_bpermute_b32 v12, v3, v5
	v_cmp_gt_u32_e32 vcc, 56, v13
	v_cndmask_b32_e64 v4, 0, 8, vcc
	v_add_lshl_u32 v4, v4, v10, 2
	v_cmp_gt_u32_e32 vcc, 60, v13
	s_waitcnt lgkmcnt(0)
	v_add_f32_e32 v12, v5, v12
	ds_bpermute_b32 v14, v4, v12
	v_cndmask_b32_e64 v5, 0, 4, vcc
	v_add_lshl_u32 v5, v5, v10, 2
	v_cmp_gt_u32_e32 vcc, 62, v13
	s_waitcnt lgkmcnt(0)
	v_add_f32_e32 v14, v12, v14
	ds_bpermute_b32 v15, v5, v14
	v_cndmask_b32_e64 v12, 0, 2, vcc
	v_add_lshl_u32 v12, v12, v10, 2
	v_cmp_ne_u32_e32 vcc, 63, v13
	v_addc_co_u32_e32 v13, vcc, 0, v10, vcc
	s_waitcnt lgkmcnt(0)
	v_add_f32_e32 v14, v14, v15
	ds_bpermute_b32 v15, v12, v14
	v_lshlrev_b32_e32 v13, 2, v13
	s_waitcnt vmcnt(0) lgkmcnt(0)
	s_barrier
	v_add_f32_e32 v14, v14, v15
	ds_bpermute_b32 v15, v13, v14
	s_waitcnt lgkmcnt(0)
	s_barrier
	s_and_saveexec_b64 s[26:27], s[8:9]
; %bb.17:                               ;   in Loop: Header=BB6_7 Depth=1
	v_add_f32_e32 v14, v14, v15
	ds_write_b32 v6, v14
; %bb.18:                               ;   in Loop: Header=BB6_7 Depth=1
	s_or_b64 exec, exec, s[26:27]
	s_waitcnt lgkmcnt(0)
	s_barrier
	s_load_dword s20, s[22:23], 0xc
	v_mov_b32_e32 v14, 0
	s_waitcnt lgkmcnt(0)
	s_bfe_u32 s20, s20, 0xa0006
	v_cmp_gt_u32_e32 vcc, s20, v0
	s_and_saveexec_b64 s[26:27], vcc
	s_cbranch_execnz .LBB6_21
; %bb.19:                               ;   in Loop: Header=BB6_7 Depth=1
	s_or_b64 exec, exec, s[26:27]
	s_and_saveexec_b64 s[26:27], s[2:3]
	s_cbranch_execnz .LBB6_22
.LBB6_20:                               ;   in Loop: Header=BB6_7 Depth=1
	s_or_b64 exec, exec, s[26:27]
	s_and_saveexec_b64 s[26:27], s[10:11]
	s_cbranch_execz .LBB6_5
	s_branch .LBB6_23
.LBB6_21:                               ;   in Loop: Header=BB6_7 Depth=1
	ds_read_b32 v14, v8
	s_or_b64 exec, exec, s[26:27]
	s_and_saveexec_b64 s[26:27], s[2:3]
	s_cbranch_execz .LBB6_20
.LBB6_22:                               ;   in Loop: Header=BB6_7 Depth=1
	s_waitcnt lgkmcnt(0)
	ds_bpermute_b32 v15, v11, v14
	s_waitcnt lgkmcnt(0)
	v_add_f32_e32 v14, v14, v15
	ds_bpermute_b32 v3, v3, v14
	s_waitcnt lgkmcnt(0)
	v_add_f32_e32 v3, v14, v3
	;; [unrolled: 3-line block ×6, first 2 shown]
	s_or_b64 exec, exec, s[26:27]
	s_and_saveexec_b64 s[26:27], s[10:11]
	s_cbranch_execz .LBB6_5
.LBB6_23:                               ;   in Loop: Header=BB6_7 Depth=1
	global_load_ushort v3, v1, s[12:13]
	s_waitcnt lgkmcnt(0)
	v_cvt_f16_f32_e32 v4, v14
	s_waitcnt vmcnt(0)
	v_add_f16_e32 v3, v3, v4
	global_store_short v1, v3, s[12:13]
	s_branch .LBB6_5
.LBB6_24:
	s_and_saveexec_b64 s[2:3], s[0:1]
	s_cbranch_execz .LBB6_27
; %bb.25:
	s_ashr_i32 s2, s6, 31
	s_and_b64 s[0:1], s[24:25], exec
	s_cselect_b32 s1, 0, s2
	s_load_dword s2, s[4:5], 0x44
	s_cselect_b32 s0, 0, s6
	s_lshl_b64 s[0:1], s[0:1], 1
	s_add_u32 s0, s14, s0
	s_addc_u32 s1, s15, s1
	s_waitcnt lgkmcnt(0)
	s_and_b32 s4, s2, 0xffff
	s_mov_b64 s[2:3], 0
	v_mov_b32_e32 v2, s13
	v_mov_b32_e32 v3, 0
.LBB6_26:                               ; =>This Inner Loop Header: Depth=1
	v_ashrrev_i32_e32 v1, 31, v0
	v_lshlrev_b64 v[4:5], 1, v[0:1]
	v_add_u32_e32 v0, s4, v0
	v_add_co_u32_e32 v4, vcc, s12, v4
	v_addc_co_u32_e32 v5, vcc, v2, v5, vcc
	global_load_ushort v1, v3, s[0:1]
	global_load_ushort v6, v[4:5], off
	v_cmp_le_i32_e32 vcc, s21, v0
	s_or_b64 s[2:3], vcc, s[2:3]
	s_waitcnt vmcnt(0)
	v_mul_f16_e32 v1, v1, v6
	global_store_short v[4:5], v1, off
	s_andn2_b64 exec, exec, s[2:3]
	s_cbranch_execnz .LBB6_26
.LBB6_27:
	s_endpgm
	.section	.rodata,"a",@progbits
	.p2align	6, 0x0
	.amdhsa_kernel _ZN2at6native12_GLOBAL__N_138multilabel_margin_loss_backward_kernelIN3c104HalfEfEEvPT_PKS5_S8_PKlS8_iibb
		.amdhsa_group_segment_fixed_size 512
		.amdhsa_private_segment_fixed_size 0
		.amdhsa_kernarg_size 312
		.amdhsa_user_sgpr_count 6
		.amdhsa_user_sgpr_private_segment_buffer 1
		.amdhsa_user_sgpr_dispatch_ptr 0
		.amdhsa_user_sgpr_queue_ptr 0
		.amdhsa_user_sgpr_kernarg_segment_ptr 1
		.amdhsa_user_sgpr_dispatch_id 0
		.amdhsa_user_sgpr_flat_scratch_init 0
		.amdhsa_user_sgpr_private_segment_size 0
		.amdhsa_uses_dynamic_stack 0
		.amdhsa_system_sgpr_private_segment_wavefront_offset 0
		.amdhsa_system_sgpr_workgroup_id_x 1
		.amdhsa_system_sgpr_workgroup_id_y 0
		.amdhsa_system_sgpr_workgroup_id_z 0
		.amdhsa_system_sgpr_workgroup_info 0
		.amdhsa_system_vgpr_workitem_id 0
		.amdhsa_next_free_vgpr 16
		.amdhsa_next_free_sgpr 38
		.amdhsa_reserve_vcc 1
		.amdhsa_reserve_flat_scratch 0
		.amdhsa_float_round_mode_32 0
		.amdhsa_float_round_mode_16_64 0
		.amdhsa_float_denorm_mode_32 3
		.amdhsa_float_denorm_mode_16_64 3
		.amdhsa_dx10_clamp 1
		.amdhsa_ieee_mode 1
		.amdhsa_fp16_overflow 0
		.amdhsa_exception_fp_ieee_invalid_op 0
		.amdhsa_exception_fp_denorm_src 0
		.amdhsa_exception_fp_ieee_div_zero 0
		.amdhsa_exception_fp_ieee_overflow 0
		.amdhsa_exception_fp_ieee_underflow 0
		.amdhsa_exception_fp_ieee_inexact 0
		.amdhsa_exception_int_div_zero 0
	.end_amdhsa_kernel
	.section	.text._ZN2at6native12_GLOBAL__N_138multilabel_margin_loss_backward_kernelIN3c104HalfEfEEvPT_PKS5_S8_PKlS8_iibb,"axG",@progbits,_ZN2at6native12_GLOBAL__N_138multilabel_margin_loss_backward_kernelIN3c104HalfEfEEvPT_PKS5_S8_PKlS8_iibb,comdat
.Lfunc_end6:
	.size	_ZN2at6native12_GLOBAL__N_138multilabel_margin_loss_backward_kernelIN3c104HalfEfEEvPT_PKS5_S8_PKlS8_iibb, .Lfunc_end6-_ZN2at6native12_GLOBAL__N_138multilabel_margin_loss_backward_kernelIN3c104HalfEfEEvPT_PKS5_S8_PKlS8_iibb
                                        ; -- End function
	.set _ZN2at6native12_GLOBAL__N_138multilabel_margin_loss_backward_kernelIN3c104HalfEfEEvPT_PKS5_S8_PKlS8_iibb.num_vgpr, 16
	.set _ZN2at6native12_GLOBAL__N_138multilabel_margin_loss_backward_kernelIN3c104HalfEfEEvPT_PKS5_S8_PKlS8_iibb.num_agpr, 0
	.set _ZN2at6native12_GLOBAL__N_138multilabel_margin_loss_backward_kernelIN3c104HalfEfEEvPT_PKS5_S8_PKlS8_iibb.numbered_sgpr, 38
	.set _ZN2at6native12_GLOBAL__N_138multilabel_margin_loss_backward_kernelIN3c104HalfEfEEvPT_PKS5_S8_PKlS8_iibb.num_named_barrier, 0
	.set _ZN2at6native12_GLOBAL__N_138multilabel_margin_loss_backward_kernelIN3c104HalfEfEEvPT_PKS5_S8_PKlS8_iibb.private_seg_size, 0
	.set _ZN2at6native12_GLOBAL__N_138multilabel_margin_loss_backward_kernelIN3c104HalfEfEEvPT_PKS5_S8_PKlS8_iibb.uses_vcc, 1
	.set _ZN2at6native12_GLOBAL__N_138multilabel_margin_loss_backward_kernelIN3c104HalfEfEEvPT_PKS5_S8_PKlS8_iibb.uses_flat_scratch, 0
	.set _ZN2at6native12_GLOBAL__N_138multilabel_margin_loss_backward_kernelIN3c104HalfEfEEvPT_PKS5_S8_PKlS8_iibb.has_dyn_sized_stack, 0
	.set _ZN2at6native12_GLOBAL__N_138multilabel_margin_loss_backward_kernelIN3c104HalfEfEEvPT_PKS5_S8_PKlS8_iibb.has_recursion, 0
	.set _ZN2at6native12_GLOBAL__N_138multilabel_margin_loss_backward_kernelIN3c104HalfEfEEvPT_PKS5_S8_PKlS8_iibb.has_indirect_call, 0
	.section	.AMDGPU.csdata,"",@progbits
; Kernel info:
; codeLenInByte = 1332
; TotalNumSgprs: 42
; NumVgprs: 16
; ScratchSize: 0
; MemoryBound: 0
; FloatMode: 240
; IeeeMode: 1
; LDSByteSize: 512 bytes/workgroup (compile time only)
; SGPRBlocks: 5
; VGPRBlocks: 3
; NumSGPRsForWavesPerEU: 42
; NumVGPRsForWavesPerEU: 16
; Occupancy: 10
; WaveLimiterHint : 1
; COMPUTE_PGM_RSRC2:SCRATCH_EN: 0
; COMPUTE_PGM_RSRC2:USER_SGPR: 6
; COMPUTE_PGM_RSRC2:TRAP_HANDLER: 0
; COMPUTE_PGM_RSRC2:TGID_X_EN: 1
; COMPUTE_PGM_RSRC2:TGID_Y_EN: 0
; COMPUTE_PGM_RSRC2:TGID_Z_EN: 0
; COMPUTE_PGM_RSRC2:TIDIG_COMP_CNT: 0
	.section	.text._ZN2at6native12_GLOBAL__N_138multilabel_margin_loss_backward_kernelIN3c108BFloat16EfEEvPT_PKS5_S8_PKlS8_iibb,"axG",@progbits,_ZN2at6native12_GLOBAL__N_138multilabel_margin_loss_backward_kernelIN3c108BFloat16EfEEvPT_PKS5_S8_PKlS8_iibb,comdat
	.globl	_ZN2at6native12_GLOBAL__N_138multilabel_margin_loss_backward_kernelIN3c108BFloat16EfEEvPT_PKS5_S8_PKlS8_iibb ; -- Begin function _ZN2at6native12_GLOBAL__N_138multilabel_margin_loss_backward_kernelIN3c108BFloat16EfEEvPT_PKS5_S8_PKlS8_iibb
	.p2align	8
	.type	_ZN2at6native12_GLOBAL__N_138multilabel_margin_loss_backward_kernelIN3c108BFloat16EfEEvPT_PKS5_S8_PKlS8_iibb,@function
_ZN2at6native12_GLOBAL__N_138multilabel_margin_loss_backward_kernelIN3c108BFloat16EfEEvPT_PKS5_S8_PKlS8_iibb: ; @_ZN2at6native12_GLOBAL__N_138multilabel_margin_loss_backward_kernelIN3c108BFloat16EfEEvPT_PKS5_S8_PKlS8_iibb
; %bb.0:
	s_load_dwordx4 s[20:23], s[4:5], 0x28
	s_load_dwordx8 s[12:19], s[4:5], 0x0
	s_load_dwordx2 s[2:3], s[4:5], 0x20
	s_waitcnt lgkmcnt(0)
	s_mul_i32 s8, s21, s6
	s_ashr_i32 s9, s8, 31
	s_lshl_b64 s[10:11], s[8:9], 1
	s_add_u32 s24, s12, s10
	s_addc_u32 s25, s13, s11
	v_cmp_gt_i32_e64 s[0:1], s21, v0
	s_and_saveexec_b64 s[12:13], s[0:1]
	s_cbranch_execz .LBB7_3
; %bb.1:
	s_load_dword s7, s[4:5], 0x44
	s_mov_b64 s[26:27], 0
	v_mov_b32_e32 v3, s25
	v_mov_b32_e32 v4, 0
	v_mov_b32_e32 v1, v0
	s_waitcnt lgkmcnt(0)
	s_and_b32 s7, s7, 0xffff
.LBB7_2:                                ; =>This Inner Loop Header: Depth=1
	v_ashrrev_i32_e32 v2, 31, v1
	v_lshlrev_b64 v[5:6], 1, v[1:2]
	v_add_u32_e32 v1, s7, v1
	v_add_co_u32_e32 v5, vcc, s24, v5
	v_addc_co_u32_e32 v6, vcc, v3, v6, vcc
	v_cmp_le_i32_e32 vcc, s21, v1
	s_or_b64 s[26:27], vcc, s[26:27]
	global_store_short v[5:6], v4, off
	s_andn2_b64 exec, exec, s[26:27]
	s_cbranch_execnz .LBB7_2
.LBB7_3:
	s_or_b64 exec, exec, s[12:13]
	s_load_dword s7, s[4:5], 0x30
	s_waitcnt vmcnt(0) lgkmcnt(0)
	s_barrier
	s_bitcmp1_b32 s7, 8
	s_cselect_b64 s[26:27], -1, 0
	s_cmp_lt_i32 s21, 1
	s_cbranch_scc1 .LBB7_24
; %bb.4:
	s_bitcmp1_b32 s22, 0
	s_cselect_b64 s[12:13], -1, 0
	s_add_u32 s16, s16, s10
	s_addc_u32 s17, s17, s11
	s_lshl_b64 s[8:9], s[8:9], 3
	s_add_u32 s7, s18, s8
	s_addc_u32 s33, s19, s9
	s_add_u32 s36, s2, s10
	s_addc_u32 s37, s3, s11
	s_and_b64 s[2:3], s[12:13], s[26:27]
	s_and_b64 s[2:3], s[2:3], exec
	s_cselect_b32 s2, s20, 1
	s_mul_i32 s2, s2, s21
	v_cvt_f32_i32_e32 v1, s2
	v_and_b32_e32 v5, 63, v0
	s_mov_b32 s19, 0
	v_mov_b32_e32 v11, 0x80
	v_div_scale_f32 v2, s[2:3], v1, v1, 1.0
	v_div_scale_f32 v3, vcc, 1.0, v1, 1.0
	s_add_u32 s22, s4, 56
	s_movk_i32 s20, 0x7fff
	v_cmp_gt_u32_e64 s[2:3], 64, v0
	v_cmp_eq_u32_e64 s[10:11], 0, v0
	v_mov_b32_e32 v8, 0x7fc0
	v_cmp_eq_u32_e64 s[8:9], 0, v5
	v_lshlrev_b32_e32 v9, 2, v5
	s_addc_u32 s23, s5, 0
	s_mov_b32 s18, s19
	v_rcp_f32_e32 v4, v2
	v_fma_f32 v6, -v2, v4, 1.0
	v_fmac_f32_e32 v4, v6, v4
	v_mul_f32_e32 v6, v3, v4
	v_fma_f32 v7, -v2, v6, v3
	v_fmac_f32_e32 v6, v7, v4
	v_fma_f32 v2, -v2, v6, v3
	v_div_fmas_f32 v3, v2, v4, v6
	v_mbcnt_lo_u32_b32 v4, -1, 0
	v_mbcnt_hi_u32_b32 v10, -1, v4
	v_lshrrev_b32_e32 v6, 4, v0
	v_mov_b32_e32 v2, 0
	v_mov_b32_e32 v7, 0x7fc00000
	v_lshl_or_b32 v11, v10, 2, v11
	v_div_fixup_f32 v1, v3, v1, 1.0
	v_bfe_u32 v3, v1, 16, 1
	v_add_u32_e32 v1, v1, v3
	v_add_u32_e32 v1, 0x7fff, v1
	v_and_b32_e32 v12, 0xffff0000, v1
	s_branch .LBB7_7
.LBB7_5:                                ;   in Loop: Header=BB7_7 Depth=1
	s_or_b64 exec, exec, s[12:13]
	s_add_i32 s18, s18, 1
	s_cmp_eq_u32 s18, s21
	s_cselect_b64 s[12:13], -1, 0
.LBB7_6:                                ;   in Loop: Header=BB7_7 Depth=1
	s_and_b64 vcc, exec, s[12:13]
	s_cbranch_vccnz .LBB7_24
.LBB7_7:                                ; =>This Loop Header: Depth=1
                                        ;     Child Loop BB7_12 Depth 2
	s_lshl_b64 s[12:13], s[18:19], 3
	s_add_u32 s12, s7, s12
	s_addc_u32 s13, s33, s13
	global_load_dwordx2 v[3:4], v2, s[12:13]
	s_mov_b64 s[12:13], -1
	s_waitcnt vmcnt(0)
	v_and_b32_e32 v1, 0x80000000, v3
	v_cmp_ne_u64_e32 vcc, 0, v[1:2]
	s_cbranch_vccnz .LBB7_6
; %bb.8:                                ;   in Loop: Header=BB7_7 Depth=1
	v_and_b32_e32 v1, 0x7fffffff, v3
	v_mov_b32_e32 v13, 0
	v_lshlrev_b32_e32 v1, 1, v1
	s_and_saveexec_b64 s[28:29], s[0:1]
	s_cbranch_execz .LBB7_16
; %bb.9:                                ;   in Loop: Header=BB7_7 Depth=1
	global_load_ushort v3, v1, s[16:17]
	s_load_dword s12, s[22:23], 0xc
	v_mov_b32_e32 v13, 0
	s_mov_b64 s[30:31], 0
	s_waitcnt lgkmcnt(0)
	s_and_b32 s38, s12, 0xffff
	s_waitcnt vmcnt(0)
	v_lshlrev_b32_e32 v3, 16, v3
	v_sub_f32_e32 v3, 1.0, v3
	v_bfe_u32 v4, v3, 16, 1
	v_add_u32_e32 v4, v3, v4
	v_add_u32_e32 v4, 0x7fff, v4
	v_and_b32_e32 v4, 0xffff0000, v4
	v_cmp_o_f32_e32 vcc, v3, v3
	v_cndmask_b32_e32 v14, v7, v4, vcc
	v_mov_b32_e32 v3, v0
	s_branch .LBB7_12
.LBB7_10:                               ;   in Loop: Header=BB7_12 Depth=2
	s_or_b64 exec, exec, s[12:13]
.LBB7_11:                               ;   in Loop: Header=BB7_12 Depth=2
	s_or_b64 exec, exec, s[34:35]
	v_add_u32_e32 v3, s38, v3
	v_cmp_le_i32_e32 vcc, s21, v3
	s_or_b64 s[30:31], vcc, s[30:31]
	s_andn2_b64 exec, exec, s[30:31]
	s_cbranch_execz .LBB7_15
.LBB7_12:                               ;   Parent Loop BB7_7 Depth=1
                                        ; =>  This Inner Loop Header: Depth=2
	v_ashrrev_i32_e32 v4, 31, v3
	v_lshlrev_b64 v[4:5], 1, v[3:4]
	v_mov_b32_e32 v16, s37
	v_add_co_u32_e32 v15, vcc, s36, v4
	v_addc_co_u32_e32 v16, vcc, v16, v5, vcc
	global_load_ushort v15, v[15:16], off
	s_waitcnt vmcnt(0)
	v_lshlrev_b32_e32 v15, 16, v15
	v_cvt_i32_f32_e32 v15, v15
	v_cmp_eq_u32_e32 vcc, 0, v15
	s_and_saveexec_b64 s[34:35], vcc
	s_cbranch_execz .LBB7_11
; %bb.13:                               ;   in Loop: Header=BB7_12 Depth=2
	v_mov_b32_e32 v16, s17
	v_add_co_u32_e32 v15, vcc, s16, v4
	v_addc_co_u32_e32 v16, vcc, v16, v5, vcc
	global_load_ushort v15, v[15:16], off
	s_waitcnt vmcnt(0)
	v_lshlrev_b32_e32 v15, 16, v15
	v_add_f32_e32 v15, v14, v15
	v_bfe_u32 v16, v15, 16, 1
	v_cmp_o_f32_e32 vcc, v15, v15
	v_add3_u32 v15, v15, v16, s20
	v_and_b32_e32 v15, 0xffff0000, v15
	v_cmp_lt_f32_e64 s[12:13], 0, v15
	s_and_b64 s[40:41], vcc, s[12:13]
	s_and_saveexec_b64 s[12:13], s[40:41]
	s_cbranch_execz .LBB7_10
; %bb.14:                               ;   in Loop: Header=BB7_12 Depth=2
	v_mov_b32_e32 v15, s25
	v_add_co_u32_e32 v4, vcc, s24, v4
	v_addc_co_u32_e32 v5, vcc, v15, v5, vcc
	global_load_ushort v15, v[4:5], off
	v_sub_f32_e32 v13, v13, v12
	s_waitcnt vmcnt(0)
	v_lshlrev_b32_e32 v15, 16, v15
	v_add_f32_e32 v15, v12, v15
	v_bfe_u32 v16, v15, 16, 1
	v_cmp_o_f32_e32 vcc, v15, v15
	v_add3_u32 v15, v15, v16, s20
	v_cndmask_b32_sdwa v15, v8, v15, vcc dst_sel:DWORD dst_unused:UNUSED_PAD src0_sel:DWORD src1_sel:WORD_1
	global_store_short v[4:5], v15, off
	s_branch .LBB7_10
.LBB7_15:                               ;   in Loop: Header=BB7_7 Depth=1
	s_or_b64 exec, exec, s[30:31]
.LBB7_16:                               ;   in Loop: Header=BB7_7 Depth=1
	s_or_b64 exec, exec, s[28:29]
	ds_bpermute_b32 v4, v11, v13
	v_and_b32_e32 v14, 63, v10
	v_cmp_gt_u32_e32 vcc, 48, v14
	v_cndmask_b32_e64 v3, 0, 16, vcc
	v_add_lshl_u32 v3, v3, v10, 2
	s_waitcnt lgkmcnt(0)
	v_add_f32_e32 v5, v13, v4
	ds_bpermute_b32 v13, v3, v5
	v_cmp_gt_u32_e32 vcc, 56, v14
	v_cndmask_b32_e64 v4, 0, 8, vcc
	v_add_lshl_u32 v4, v4, v10, 2
	v_cmp_gt_u32_e32 vcc, 60, v14
	s_waitcnt lgkmcnt(0)
	v_add_f32_e32 v13, v5, v13
	ds_bpermute_b32 v15, v4, v13
	v_cndmask_b32_e64 v5, 0, 4, vcc
	v_add_lshl_u32 v5, v5, v10, 2
	v_cmp_gt_u32_e32 vcc, 62, v14
	s_waitcnt lgkmcnt(0)
	v_add_f32_e32 v15, v13, v15
	ds_bpermute_b32 v16, v5, v15
	v_cndmask_b32_e64 v13, 0, 2, vcc
	v_add_lshl_u32 v13, v13, v10, 2
	v_cmp_ne_u32_e32 vcc, 63, v14
	v_addc_co_u32_e32 v14, vcc, 0, v10, vcc
	s_waitcnt lgkmcnt(0)
	v_add_f32_e32 v15, v15, v16
	ds_bpermute_b32 v16, v13, v15
	v_lshlrev_b32_e32 v14, 2, v14
	s_waitcnt vmcnt(0) lgkmcnt(0)
	s_barrier
	v_add_f32_e32 v15, v15, v16
	ds_bpermute_b32 v16, v14, v15
	s_waitcnt lgkmcnt(0)
	s_barrier
	s_and_saveexec_b64 s[12:13], s[8:9]
; %bb.17:                               ;   in Loop: Header=BB7_7 Depth=1
	v_add_f32_e32 v15, v15, v16
	ds_write_b32 v6, v15
; %bb.18:                               ;   in Loop: Header=BB7_7 Depth=1
	s_or_b64 exec, exec, s[12:13]
	s_waitcnt lgkmcnt(0)
	s_barrier
	s_load_dword s12, s[22:23], 0xc
	v_mov_b32_e32 v15, 0
	s_waitcnt lgkmcnt(0)
	s_bfe_u32 s12, s12, 0xa0006
	v_cmp_gt_u32_e32 vcc, s12, v0
	s_and_saveexec_b64 s[12:13], vcc
	s_cbranch_execnz .LBB7_21
; %bb.19:                               ;   in Loop: Header=BB7_7 Depth=1
	s_or_b64 exec, exec, s[12:13]
	s_and_saveexec_b64 s[12:13], s[2:3]
	s_cbranch_execnz .LBB7_22
.LBB7_20:                               ;   in Loop: Header=BB7_7 Depth=1
	s_or_b64 exec, exec, s[12:13]
	s_and_saveexec_b64 s[12:13], s[10:11]
	s_cbranch_execz .LBB7_5
	s_branch .LBB7_23
.LBB7_21:                               ;   in Loop: Header=BB7_7 Depth=1
	ds_read_b32 v15, v9
	s_or_b64 exec, exec, s[12:13]
	s_and_saveexec_b64 s[12:13], s[2:3]
	s_cbranch_execz .LBB7_20
.LBB7_22:                               ;   in Loop: Header=BB7_7 Depth=1
	s_waitcnt lgkmcnt(0)
	ds_bpermute_b32 v16, v11, v15
	s_waitcnt lgkmcnt(0)
	v_add_f32_e32 v15, v15, v16
	ds_bpermute_b32 v3, v3, v15
	s_waitcnt lgkmcnt(0)
	v_add_f32_e32 v3, v15, v3
	;; [unrolled: 3-line block ×6, first 2 shown]
	s_or_b64 exec, exec, s[12:13]
	s_and_saveexec_b64 s[12:13], s[10:11]
	s_cbranch_execz .LBB7_5
.LBB7_23:                               ;   in Loop: Header=BB7_7 Depth=1
	global_load_ushort v3, v1, s[24:25]
	s_waitcnt lgkmcnt(0)
	v_bfe_u32 v4, v15, 16, 1
	v_add3_u32 v4, v15, v4, s20
	v_and_b32_e32 v4, 0xffff0000, v4
	v_cmp_o_f32_e32 vcc, v15, v15
	v_cndmask_b32_e32 v4, v7, v4, vcc
	s_waitcnt vmcnt(0)
	v_lshlrev_b32_e32 v3, 16, v3
	v_add_f32_e32 v3, v4, v3
	v_bfe_u32 v4, v3, 16, 1
	v_cmp_o_f32_e32 vcc, v3, v3
	v_add3_u32 v3, v3, v4, s20
	v_cndmask_b32_sdwa v3, v8, v3, vcc dst_sel:DWORD dst_unused:UNUSED_PAD src0_sel:DWORD src1_sel:WORD_1
	global_store_short v1, v3, s[24:25]
	s_branch .LBB7_5
.LBB7_24:
	s_and_saveexec_b64 s[2:3], s[0:1]
	s_cbranch_execz .LBB7_27
; %bb.25:
	s_ashr_i32 s2, s6, 31
	s_load_dword s4, s[4:5], 0x44
	s_and_b64 s[0:1], s[26:27], exec
	s_cselect_b32 s1, 0, s2
	s_cselect_b32 s0, 0, s6
	s_lshl_b64 s[0:1], s[0:1], 1
	s_add_u32 s2, s14, s0
	s_addc_u32 s3, s15, s1
	s_waitcnt lgkmcnt(0)
	s_and_b32 s6, s4, 0xffff
	s_mov_b64 s[4:5], 0
	v_mov_b32_e32 v2, s25
	v_mov_b32_e32 v3, 0
	s_movk_i32 s7, 0x7fff
	v_mov_b32_e32 v4, 0x7fc0
.LBB7_26:                               ; =>This Inner Loop Header: Depth=1
	v_ashrrev_i32_e32 v1, 31, v0
	v_lshlrev_b64 v[5:6], 1, v[0:1]
	v_add_u32_e32 v0, s6, v0
	v_add_co_u32_e32 v5, vcc, s24, v5
	v_addc_co_u32_e32 v6, vcc, v2, v6, vcc
	global_load_ushort v1, v3, s[2:3]
	global_load_ushort v7, v[5:6], off
	v_cmp_le_i32_e64 s[0:1], s21, v0
	s_or_b64 s[4:5], s[0:1], s[4:5]
	s_waitcnt vmcnt(1)
	v_lshlrev_b32_e32 v1, 16, v1
	s_waitcnt vmcnt(0)
	v_lshlrev_b32_e32 v7, 16, v7
	v_mul_f32_e32 v1, v1, v7
	v_bfe_u32 v7, v1, 16, 1
	v_cmp_o_f32_e32 vcc, v1, v1
	v_add3_u32 v1, v1, v7, s7
	v_cndmask_b32_sdwa v1, v4, v1, vcc dst_sel:DWORD dst_unused:UNUSED_PAD src0_sel:DWORD src1_sel:WORD_1
	global_store_short v[5:6], v1, off
	s_andn2_b64 exec, exec, s[4:5]
	s_cbranch_execnz .LBB7_26
.LBB7_27:
	s_endpgm
	.section	.rodata,"a",@progbits
	.p2align	6, 0x0
	.amdhsa_kernel _ZN2at6native12_GLOBAL__N_138multilabel_margin_loss_backward_kernelIN3c108BFloat16EfEEvPT_PKS5_S8_PKlS8_iibb
		.amdhsa_group_segment_fixed_size 512
		.amdhsa_private_segment_fixed_size 0
		.amdhsa_kernarg_size 312
		.amdhsa_user_sgpr_count 6
		.amdhsa_user_sgpr_private_segment_buffer 1
		.amdhsa_user_sgpr_dispatch_ptr 0
		.amdhsa_user_sgpr_queue_ptr 0
		.amdhsa_user_sgpr_kernarg_segment_ptr 1
		.amdhsa_user_sgpr_dispatch_id 0
		.amdhsa_user_sgpr_flat_scratch_init 0
		.amdhsa_user_sgpr_private_segment_size 0
		.amdhsa_uses_dynamic_stack 0
		.amdhsa_system_sgpr_private_segment_wavefront_offset 0
		.amdhsa_system_sgpr_workgroup_id_x 1
		.amdhsa_system_sgpr_workgroup_id_y 0
		.amdhsa_system_sgpr_workgroup_id_z 0
		.amdhsa_system_sgpr_workgroup_info 0
		.amdhsa_system_vgpr_workitem_id 0
		.amdhsa_next_free_vgpr 17
		.amdhsa_next_free_sgpr 42
		.amdhsa_reserve_vcc 1
		.amdhsa_reserve_flat_scratch 0
		.amdhsa_float_round_mode_32 0
		.amdhsa_float_round_mode_16_64 0
		.amdhsa_float_denorm_mode_32 3
		.amdhsa_float_denorm_mode_16_64 3
		.amdhsa_dx10_clamp 1
		.amdhsa_ieee_mode 1
		.amdhsa_fp16_overflow 0
		.amdhsa_exception_fp_ieee_invalid_op 0
		.amdhsa_exception_fp_denorm_src 0
		.amdhsa_exception_fp_ieee_div_zero 0
		.amdhsa_exception_fp_ieee_overflow 0
		.amdhsa_exception_fp_ieee_underflow 0
		.amdhsa_exception_fp_ieee_inexact 0
		.amdhsa_exception_int_div_zero 0
	.end_amdhsa_kernel
	.section	.text._ZN2at6native12_GLOBAL__N_138multilabel_margin_loss_backward_kernelIN3c108BFloat16EfEEvPT_PKS5_S8_PKlS8_iibb,"axG",@progbits,_ZN2at6native12_GLOBAL__N_138multilabel_margin_loss_backward_kernelIN3c108BFloat16EfEEvPT_PKS5_S8_PKlS8_iibb,comdat
.Lfunc_end7:
	.size	_ZN2at6native12_GLOBAL__N_138multilabel_margin_loss_backward_kernelIN3c108BFloat16EfEEvPT_PKS5_S8_PKlS8_iibb, .Lfunc_end7-_ZN2at6native12_GLOBAL__N_138multilabel_margin_loss_backward_kernelIN3c108BFloat16EfEEvPT_PKS5_S8_PKlS8_iibb
                                        ; -- End function
	.set _ZN2at6native12_GLOBAL__N_138multilabel_margin_loss_backward_kernelIN3c108BFloat16EfEEvPT_PKS5_S8_PKlS8_iibb.num_vgpr, 17
	.set _ZN2at6native12_GLOBAL__N_138multilabel_margin_loss_backward_kernelIN3c108BFloat16EfEEvPT_PKS5_S8_PKlS8_iibb.num_agpr, 0
	.set _ZN2at6native12_GLOBAL__N_138multilabel_margin_loss_backward_kernelIN3c108BFloat16EfEEvPT_PKS5_S8_PKlS8_iibb.numbered_sgpr, 42
	.set _ZN2at6native12_GLOBAL__N_138multilabel_margin_loss_backward_kernelIN3c108BFloat16EfEEvPT_PKS5_S8_PKlS8_iibb.num_named_barrier, 0
	.set _ZN2at6native12_GLOBAL__N_138multilabel_margin_loss_backward_kernelIN3c108BFloat16EfEEvPT_PKS5_S8_PKlS8_iibb.private_seg_size, 0
	.set _ZN2at6native12_GLOBAL__N_138multilabel_margin_loss_backward_kernelIN3c108BFloat16EfEEvPT_PKS5_S8_PKlS8_iibb.uses_vcc, 1
	.set _ZN2at6native12_GLOBAL__N_138multilabel_margin_loss_backward_kernelIN3c108BFloat16EfEEvPT_PKS5_S8_PKlS8_iibb.uses_flat_scratch, 0
	.set _ZN2at6native12_GLOBAL__N_138multilabel_margin_loss_backward_kernelIN3c108BFloat16EfEEvPT_PKS5_S8_PKlS8_iibb.has_dyn_sized_stack, 0
	.set _ZN2at6native12_GLOBAL__N_138multilabel_margin_loss_backward_kernelIN3c108BFloat16EfEEvPT_PKS5_S8_PKlS8_iibb.has_recursion, 0
	.set _ZN2at6native12_GLOBAL__N_138multilabel_margin_loss_backward_kernelIN3c108BFloat16EfEEvPT_PKS5_S8_PKlS8_iibb.has_indirect_call, 0
	.section	.AMDGPU.csdata,"",@progbits
; Kernel info:
; codeLenInByte = 1600
; TotalNumSgprs: 46
; NumVgprs: 17
; ScratchSize: 0
; MemoryBound: 0
; FloatMode: 240
; IeeeMode: 1
; LDSByteSize: 512 bytes/workgroup (compile time only)
; SGPRBlocks: 5
; VGPRBlocks: 4
; NumSGPRsForWavesPerEU: 46
; NumVGPRsForWavesPerEU: 17
; Occupancy: 10
; WaveLimiterHint : 1
; COMPUTE_PGM_RSRC2:SCRATCH_EN: 0
; COMPUTE_PGM_RSRC2:USER_SGPR: 6
; COMPUTE_PGM_RSRC2:TRAP_HANDLER: 0
; COMPUTE_PGM_RSRC2:TGID_X_EN: 1
; COMPUTE_PGM_RSRC2:TGID_Y_EN: 0
; COMPUTE_PGM_RSRC2:TGID_Z_EN: 0
; COMPUTE_PGM_RSRC2:TIDIG_COMP_CNT: 0
	.section	.AMDGPU.gpr_maximums,"",@progbits
	.set amdgpu.max_num_vgpr, 0
	.set amdgpu.max_num_agpr, 0
	.set amdgpu.max_num_sgpr, 0
	.section	.AMDGPU.csdata,"",@progbits
	.type	__hip_cuid_dbeb34f1f8c93cfc,@object ; @__hip_cuid_dbeb34f1f8c93cfc
	.section	.bss,"aw",@nobits
	.globl	__hip_cuid_dbeb34f1f8c93cfc
__hip_cuid_dbeb34f1f8c93cfc:
	.byte	0                               ; 0x0
	.size	__hip_cuid_dbeb34f1f8c93cfc, 1

	.ident	"AMD clang version 22.0.0git (https://github.com/RadeonOpenCompute/llvm-project roc-7.2.4 26084 f58b06dce1f9c15707c5f808fd002e18c2accf7e)"
	.section	".note.GNU-stack","",@progbits
	.addrsig
	.addrsig_sym __hip_cuid_dbeb34f1f8c93cfc
	.amdgpu_metadata
---
amdhsa.kernels:
  - .args:
      - .address_space:  global
        .offset:         0
        .size:           8
        .value_kind:     global_buffer
      - .address_space:  global
        .offset:         8
        .size:           8
        .value_kind:     global_buffer
      - .address_space:  global
        .offset:         16
        .size:           8
        .value_kind:     global_buffer
      - .address_space:  global
        .offset:         24
        .size:           8
        .value_kind:     global_buffer
      - .offset:         32
        .size:           4
        .value_kind:     by_value
      - .offset:         36
        .size:           4
        .value_kind:     by_value
      - .offset:         40
        .size:           1
        .value_kind:     by_value
      - .offset:         48
        .size:           4
        .value_kind:     hidden_block_count_x
      - .offset:         52
        .size:           4
        .value_kind:     hidden_block_count_y
      - .offset:         56
        .size:           4
        .value_kind:     hidden_block_count_z
      - .offset:         60
        .size:           2
        .value_kind:     hidden_group_size_x
      - .offset:         62
        .size:           2
        .value_kind:     hidden_group_size_y
      - .offset:         64
        .size:           2
        .value_kind:     hidden_group_size_z
      - .offset:         66
        .size:           2
        .value_kind:     hidden_remainder_x
      - .offset:         68
        .size:           2
        .value_kind:     hidden_remainder_y
      - .offset:         70
        .size:           2
        .value_kind:     hidden_remainder_z
      - .offset:         88
        .size:           8
        .value_kind:     hidden_global_offset_x
      - .offset:         96
        .size:           8
        .value_kind:     hidden_global_offset_y
      - .offset:         104
        .size:           8
        .value_kind:     hidden_global_offset_z
      - .offset:         112
        .size:           2
        .value_kind:     hidden_grid_dims
    .group_segment_fixed_size: 1024
    .kernarg_segment_align: 8
    .kernarg_segment_size: 304
    .language:       OpenCL C
    .language_version:
      - 2
      - 0
    .max_flat_workgroup_size: 128
    .name:           _ZN2at6native12_GLOBAL__N_137multilabel_margin_loss_forward_kernelIddEEvPT_PKS3_PKlS4_iib
    .private_segment_fixed_size: 0
    .sgpr_count:     38
    .sgpr_spill_count: 0
    .symbol:         _ZN2at6native12_GLOBAL__N_137multilabel_margin_loss_forward_kernelIddEEvPT_PKS3_PKlS4_iib.kd
    .uniform_work_group_size: 1
    .uses_dynamic_stack: false
    .vgpr_count:     13
    .vgpr_spill_count: 0
    .wavefront_size: 64
  - .args:
      - .address_space:  global
        .offset:         0
        .size:           8
        .value_kind:     global_buffer
      - .address_space:  global
        .offset:         8
        .size:           8
        .value_kind:     global_buffer
      - .address_space:  global
        .offset:         16
        .size:           8
        .value_kind:     global_buffer
      - .address_space:  global
        .offset:         24
        .size:           8
        .value_kind:     global_buffer
      - .offset:         32
        .size:           4
        .value_kind:     by_value
      - .offset:         36
        .size:           4
        .value_kind:     by_value
      - .offset:         40
        .size:           1
        .value_kind:     by_value
      - .offset:         48
        .size:           4
        .value_kind:     hidden_block_count_x
      - .offset:         52
        .size:           4
        .value_kind:     hidden_block_count_y
      - .offset:         56
        .size:           4
        .value_kind:     hidden_block_count_z
      - .offset:         60
        .size:           2
        .value_kind:     hidden_group_size_x
      - .offset:         62
        .size:           2
        .value_kind:     hidden_group_size_y
      - .offset:         64
        .size:           2
        .value_kind:     hidden_group_size_z
      - .offset:         66
        .size:           2
        .value_kind:     hidden_remainder_x
      - .offset:         68
        .size:           2
        .value_kind:     hidden_remainder_y
      - .offset:         70
        .size:           2
        .value_kind:     hidden_remainder_z
      - .offset:         88
        .size:           8
        .value_kind:     hidden_global_offset_x
      - .offset:         96
        .size:           8
        .value_kind:     hidden_global_offset_y
      - .offset:         104
        .size:           8
        .value_kind:     hidden_global_offset_z
      - .offset:         112
        .size:           2
        .value_kind:     hidden_grid_dims
    .group_segment_fixed_size: 512
    .kernarg_segment_align: 8
    .kernarg_segment_size: 304
    .language:       OpenCL C
    .language_version:
      - 2
      - 0
    .max_flat_workgroup_size: 128
    .name:           _ZN2at6native12_GLOBAL__N_137multilabel_margin_loss_forward_kernelIffEEvPT_PKS3_PKlS4_iib
    .private_segment_fixed_size: 0
    .sgpr_count:     38
    .sgpr_spill_count: 0
    .symbol:         _ZN2at6native12_GLOBAL__N_137multilabel_margin_loss_forward_kernelIffEEvPT_PKS3_PKlS4_iib.kd
    .uniform_work_group_size: 1
    .uses_dynamic_stack: false
    .vgpr_count:     11
    .vgpr_spill_count: 0
    .wavefront_size: 64
  - .args:
      - .address_space:  global
        .offset:         0
        .size:           8
        .value_kind:     global_buffer
      - .address_space:  global
        .offset:         8
        .size:           8
        .value_kind:     global_buffer
      - .address_space:  global
        .offset:         16
        .size:           8
        .value_kind:     global_buffer
      - .address_space:  global
        .offset:         24
        .size:           8
        .value_kind:     global_buffer
      - .offset:         32
        .size:           4
        .value_kind:     by_value
      - .offset:         36
        .size:           4
        .value_kind:     by_value
      - .offset:         40
        .size:           1
        .value_kind:     by_value
      - .offset:         48
        .size:           4
        .value_kind:     hidden_block_count_x
      - .offset:         52
        .size:           4
        .value_kind:     hidden_block_count_y
      - .offset:         56
        .size:           4
        .value_kind:     hidden_block_count_z
      - .offset:         60
        .size:           2
        .value_kind:     hidden_group_size_x
      - .offset:         62
        .size:           2
        .value_kind:     hidden_group_size_y
      - .offset:         64
        .size:           2
        .value_kind:     hidden_group_size_z
      - .offset:         66
        .size:           2
        .value_kind:     hidden_remainder_x
      - .offset:         68
        .size:           2
        .value_kind:     hidden_remainder_y
      - .offset:         70
        .size:           2
        .value_kind:     hidden_remainder_z
      - .offset:         88
        .size:           8
        .value_kind:     hidden_global_offset_x
      - .offset:         96
        .size:           8
        .value_kind:     hidden_global_offset_y
      - .offset:         104
        .size:           8
        .value_kind:     hidden_global_offset_z
      - .offset:         112
        .size:           2
        .value_kind:     hidden_grid_dims
    .group_segment_fixed_size: 512
    .kernarg_segment_align: 8
    .kernarg_segment_size: 304
    .language:       OpenCL C
    .language_version:
      - 2
      - 0
    .max_flat_workgroup_size: 128
    .name:           _ZN2at6native12_GLOBAL__N_137multilabel_margin_loss_forward_kernelIN3c104HalfEfEEvPT_PKS5_PKlS6_iib
    .private_segment_fixed_size: 0
    .sgpr_count:     40
    .sgpr_spill_count: 0
    .symbol:         _ZN2at6native12_GLOBAL__N_137multilabel_margin_loss_forward_kernelIN3c104HalfEfEEvPT_PKS5_PKlS6_iib.kd
    .uniform_work_group_size: 1
    .uses_dynamic_stack: false
    .vgpr_count:     11
    .vgpr_spill_count: 0
    .wavefront_size: 64
  - .args:
      - .address_space:  global
        .offset:         0
        .size:           8
        .value_kind:     global_buffer
      - .address_space:  global
        .offset:         8
        .size:           8
        .value_kind:     global_buffer
      - .address_space:  global
        .offset:         16
        .size:           8
        .value_kind:     global_buffer
      - .address_space:  global
        .offset:         24
        .size:           8
        .value_kind:     global_buffer
      - .offset:         32
        .size:           4
        .value_kind:     by_value
      - .offset:         36
        .size:           4
        .value_kind:     by_value
      - .offset:         40
        .size:           1
        .value_kind:     by_value
      - .offset:         48
        .size:           4
        .value_kind:     hidden_block_count_x
      - .offset:         52
        .size:           4
        .value_kind:     hidden_block_count_y
      - .offset:         56
        .size:           4
        .value_kind:     hidden_block_count_z
      - .offset:         60
        .size:           2
        .value_kind:     hidden_group_size_x
      - .offset:         62
        .size:           2
        .value_kind:     hidden_group_size_y
      - .offset:         64
        .size:           2
        .value_kind:     hidden_group_size_z
      - .offset:         66
        .size:           2
        .value_kind:     hidden_remainder_x
      - .offset:         68
        .size:           2
        .value_kind:     hidden_remainder_y
      - .offset:         70
        .size:           2
        .value_kind:     hidden_remainder_z
      - .offset:         88
        .size:           8
        .value_kind:     hidden_global_offset_x
      - .offset:         96
        .size:           8
        .value_kind:     hidden_global_offset_y
      - .offset:         104
        .size:           8
        .value_kind:     hidden_global_offset_z
      - .offset:         112
        .size:           2
        .value_kind:     hidden_grid_dims
    .group_segment_fixed_size: 512
    .kernarg_segment_align: 8
    .kernarg_segment_size: 304
    .language:       OpenCL C
    .language_version:
      - 2
      - 0
    .max_flat_workgroup_size: 128
    .name:           _ZN2at6native12_GLOBAL__N_137multilabel_margin_loss_forward_kernelIN3c108BFloat16EfEEvPT_PKS5_PKlS6_iib
    .private_segment_fixed_size: 0
    .sgpr_count:     40
    .sgpr_spill_count: 0
    .symbol:         _ZN2at6native12_GLOBAL__N_137multilabel_margin_loss_forward_kernelIN3c108BFloat16EfEEvPT_PKS5_PKlS6_iib.kd
    .uniform_work_group_size: 1
    .uses_dynamic_stack: false
    .vgpr_count:     11
    .vgpr_spill_count: 0
    .wavefront_size: 64
  - .args:
      - .address_space:  global
        .offset:         0
        .size:           8
        .value_kind:     global_buffer
      - .address_space:  global
        .offset:         8
        .size:           8
        .value_kind:     global_buffer
      - .address_space:  global
        .offset:         16
        .size:           8
        .value_kind:     global_buffer
      - .address_space:  global
        .offset:         24
        .size:           8
        .value_kind:     global_buffer
      - .address_space:  global
        .offset:         32
        .size:           8
        .value_kind:     global_buffer
      - .offset:         40
        .size:           4
        .value_kind:     by_value
      - .offset:         44
        .size:           4
        .value_kind:     by_value
      - .offset:         48
        .size:           1
        .value_kind:     by_value
      - .offset:         49
        .size:           1
        .value_kind:     by_value
      - .offset:         56
        .size:           4
        .value_kind:     hidden_block_count_x
      - .offset:         60
        .size:           4
        .value_kind:     hidden_block_count_y
      - .offset:         64
        .size:           4
        .value_kind:     hidden_block_count_z
      - .offset:         68
        .size:           2
        .value_kind:     hidden_group_size_x
      - .offset:         70
        .size:           2
        .value_kind:     hidden_group_size_y
      - .offset:         72
        .size:           2
        .value_kind:     hidden_group_size_z
      - .offset:         74
        .size:           2
        .value_kind:     hidden_remainder_x
      - .offset:         76
        .size:           2
        .value_kind:     hidden_remainder_y
      - .offset:         78
        .size:           2
        .value_kind:     hidden_remainder_z
      - .offset:         96
        .size:           8
        .value_kind:     hidden_global_offset_x
      - .offset:         104
        .size:           8
        .value_kind:     hidden_global_offset_y
      - .offset:         112
        .size:           8
        .value_kind:     hidden_global_offset_z
      - .offset:         120
        .size:           2
        .value_kind:     hidden_grid_dims
    .group_segment_fixed_size: 1024
    .kernarg_segment_align: 8
    .kernarg_segment_size: 312
    .language:       OpenCL C
    .language_version:
      - 2
      - 0
    .max_flat_workgroup_size: 128
    .name:           _ZN2at6native12_GLOBAL__N_138multilabel_margin_loss_backward_kernelIddEEvPT_PKS3_S6_PKlS6_iibb
    .private_segment_fixed_size: 0
    .sgpr_count:     44
    .sgpr_spill_count: 0
    .symbol:         _ZN2at6native12_GLOBAL__N_138multilabel_margin_loss_backward_kernelIddEEvPT_PKS3_S6_PKlS6_iibb.kd
    .uniform_work_group_size: 1
    .uses_dynamic_stack: false
    .vgpr_count:     18
    .vgpr_spill_count: 0
    .wavefront_size: 64
  - .args:
      - .address_space:  global
        .offset:         0
        .size:           8
        .value_kind:     global_buffer
      - .address_space:  global
        .offset:         8
        .size:           8
        .value_kind:     global_buffer
      - .address_space:  global
        .offset:         16
        .size:           8
        .value_kind:     global_buffer
      - .address_space:  global
        .offset:         24
        .size:           8
        .value_kind:     global_buffer
      - .address_space:  global
        .offset:         32
        .size:           8
        .value_kind:     global_buffer
      - .offset:         40
        .size:           4
        .value_kind:     by_value
      - .offset:         44
        .size:           4
        .value_kind:     by_value
      - .offset:         48
        .size:           1
        .value_kind:     by_value
      - .offset:         49
        .size:           1
        .value_kind:     by_value
      - .offset:         56
        .size:           4
        .value_kind:     hidden_block_count_x
      - .offset:         60
        .size:           4
        .value_kind:     hidden_block_count_y
      - .offset:         64
        .size:           4
        .value_kind:     hidden_block_count_z
      - .offset:         68
        .size:           2
        .value_kind:     hidden_group_size_x
      - .offset:         70
        .size:           2
        .value_kind:     hidden_group_size_y
      - .offset:         72
        .size:           2
        .value_kind:     hidden_group_size_z
      - .offset:         74
        .size:           2
        .value_kind:     hidden_remainder_x
      - .offset:         76
        .size:           2
        .value_kind:     hidden_remainder_y
      - .offset:         78
        .size:           2
        .value_kind:     hidden_remainder_z
      - .offset:         96
        .size:           8
        .value_kind:     hidden_global_offset_x
      - .offset:         104
        .size:           8
        .value_kind:     hidden_global_offset_y
      - .offset:         112
        .size:           8
        .value_kind:     hidden_global_offset_z
      - .offset:         120
        .size:           2
        .value_kind:     hidden_grid_dims
    .group_segment_fixed_size: 512
    .kernarg_segment_align: 8
    .kernarg_segment_size: 312
    .language:       OpenCL C
    .language_version:
      - 2
      - 0
    .max_flat_workgroup_size: 128
    .name:           _ZN2at6native12_GLOBAL__N_138multilabel_margin_loss_backward_kernelIffEEvPT_PKS3_S6_PKlS6_iibb
    .private_segment_fixed_size: 0
    .sgpr_count:     44
    .sgpr_spill_count: 0
    .symbol:         _ZN2at6native12_GLOBAL__N_138multilabel_margin_loss_backward_kernelIffEEvPT_PKS3_S6_PKlS6_iibb.kd
    .uniform_work_group_size: 1
    .uses_dynamic_stack: false
    .vgpr_count:     14
    .vgpr_spill_count: 0
    .wavefront_size: 64
  - .args:
      - .address_space:  global
        .offset:         0
        .size:           8
        .value_kind:     global_buffer
      - .address_space:  global
        .offset:         8
        .size:           8
        .value_kind:     global_buffer
      - .address_space:  global
        .offset:         16
        .size:           8
        .value_kind:     global_buffer
      - .address_space:  global
        .offset:         24
        .size:           8
        .value_kind:     global_buffer
      - .address_space:  global
        .offset:         32
        .size:           8
        .value_kind:     global_buffer
      - .offset:         40
        .size:           4
        .value_kind:     by_value
      - .offset:         44
        .size:           4
        .value_kind:     by_value
      - .offset:         48
        .size:           1
        .value_kind:     by_value
      - .offset:         49
        .size:           1
        .value_kind:     by_value
      - .offset:         56
        .size:           4
        .value_kind:     hidden_block_count_x
      - .offset:         60
        .size:           4
        .value_kind:     hidden_block_count_y
      - .offset:         64
        .size:           4
        .value_kind:     hidden_block_count_z
      - .offset:         68
        .size:           2
        .value_kind:     hidden_group_size_x
      - .offset:         70
        .size:           2
        .value_kind:     hidden_group_size_y
      - .offset:         72
        .size:           2
        .value_kind:     hidden_group_size_z
      - .offset:         74
        .size:           2
        .value_kind:     hidden_remainder_x
      - .offset:         76
        .size:           2
        .value_kind:     hidden_remainder_y
      - .offset:         78
        .size:           2
        .value_kind:     hidden_remainder_z
      - .offset:         96
        .size:           8
        .value_kind:     hidden_global_offset_x
      - .offset:         104
        .size:           8
        .value_kind:     hidden_global_offset_y
      - .offset:         112
        .size:           8
        .value_kind:     hidden_global_offset_z
      - .offset:         120
        .size:           2
        .value_kind:     hidden_grid_dims
    .group_segment_fixed_size: 512
    .kernarg_segment_align: 8
    .kernarg_segment_size: 312
    .language:       OpenCL C
    .language_version:
      - 2
      - 0
    .max_flat_workgroup_size: 128
    .name:           _ZN2at6native12_GLOBAL__N_138multilabel_margin_loss_backward_kernelIN3c104HalfEfEEvPT_PKS5_S8_PKlS8_iibb
    .private_segment_fixed_size: 0
    .sgpr_count:     42
    .sgpr_spill_count: 0
    .symbol:         _ZN2at6native12_GLOBAL__N_138multilabel_margin_loss_backward_kernelIN3c104HalfEfEEvPT_PKS5_S8_PKlS8_iibb.kd
    .uniform_work_group_size: 1
    .uses_dynamic_stack: false
    .vgpr_count:     16
    .vgpr_spill_count: 0
    .wavefront_size: 64
  - .args:
      - .address_space:  global
        .offset:         0
        .size:           8
        .value_kind:     global_buffer
      - .address_space:  global
        .offset:         8
        .size:           8
        .value_kind:     global_buffer
      - .address_space:  global
        .offset:         16
        .size:           8
        .value_kind:     global_buffer
      - .address_space:  global
        .offset:         24
        .size:           8
        .value_kind:     global_buffer
      - .address_space:  global
        .offset:         32
        .size:           8
        .value_kind:     global_buffer
      - .offset:         40
        .size:           4
        .value_kind:     by_value
      - .offset:         44
        .size:           4
        .value_kind:     by_value
      - .offset:         48
        .size:           1
        .value_kind:     by_value
      - .offset:         49
        .size:           1
        .value_kind:     by_value
      - .offset:         56
        .size:           4
        .value_kind:     hidden_block_count_x
      - .offset:         60
        .size:           4
        .value_kind:     hidden_block_count_y
      - .offset:         64
        .size:           4
        .value_kind:     hidden_block_count_z
      - .offset:         68
        .size:           2
        .value_kind:     hidden_group_size_x
      - .offset:         70
        .size:           2
        .value_kind:     hidden_group_size_y
      - .offset:         72
        .size:           2
        .value_kind:     hidden_group_size_z
      - .offset:         74
        .size:           2
        .value_kind:     hidden_remainder_x
      - .offset:         76
        .size:           2
        .value_kind:     hidden_remainder_y
      - .offset:         78
        .size:           2
        .value_kind:     hidden_remainder_z
      - .offset:         96
        .size:           8
        .value_kind:     hidden_global_offset_x
      - .offset:         104
        .size:           8
        .value_kind:     hidden_global_offset_y
      - .offset:         112
        .size:           8
        .value_kind:     hidden_global_offset_z
      - .offset:         120
        .size:           2
        .value_kind:     hidden_grid_dims
    .group_segment_fixed_size: 512
    .kernarg_segment_align: 8
    .kernarg_segment_size: 312
    .language:       OpenCL C
    .language_version:
      - 2
      - 0
    .max_flat_workgroup_size: 128
    .name:           _ZN2at6native12_GLOBAL__N_138multilabel_margin_loss_backward_kernelIN3c108BFloat16EfEEvPT_PKS5_S8_PKlS8_iibb
    .private_segment_fixed_size: 0
    .sgpr_count:     46
    .sgpr_spill_count: 0
    .symbol:         _ZN2at6native12_GLOBAL__N_138multilabel_margin_loss_backward_kernelIN3c108BFloat16EfEEvPT_PKS5_S8_PKlS8_iibb.kd
    .uniform_work_group_size: 1
    .uses_dynamic_stack: false
    .vgpr_count:     17
    .vgpr_spill_count: 0
    .wavefront_size: 64
amdhsa.target:   amdgcn-amd-amdhsa--gfx906
amdhsa.version:
  - 1
  - 2
...

	.end_amdgpu_metadata
